;; amdgpu-corpus repo=ROCm/aiter kind=harvested arch=n/a opt=n/a

/root/src/amdgpu-assembly/repos/ROCm__aiter/hsa/gfx950/f4gemm/f4gemm_bf16_per1x32Fp4_BpreShuffle_64x128.co:	file format elf64-amdgpu

Disassembly of section .text:

0000000000002c00 <_ZN5aiter41f4gemm_bf16_per1x32Fp4_BpreShuffle_64x128E>:
	s_and_b32 s1, s1, 0xffff                                   // 000000002C00: 8601FF01 0000FFFF
	s_load_dwordx2 s[4:5], s[0:1], 0x0                         // 000000002C08: C0060100 00000000
	s_load_dwordx2 s[8:9], s[0:1], 0x10                        // 000000002C10: C0060200 00000010
	s_load_dwordx2 s[12:13], s[0:1], 0x20                      // 000000002C18: C0060300 00000020
	s_load_dwordx2 s[16:17], s[0:1], 0x30                      // 000000002C20: C0060400 00000030
	s_load_dword s41, s[0:1], 0x40                             // 000000002C28: C0020A40 00000040
	s_load_dword s42, s[0:1], 0x50                             // 000000002C30: C0020A80 00000050
	s_load_dword s36, s[0:1], 0x80                             // 000000002C38: C0020900 00000080
	s_load_dword s37, s[0:1], 0xa0                             // 000000002C40: C0020940 000000A0
	s_load_dword s38, s[0:1], 0xc0                             // 000000002C48: C0020980 000000C0
	s_load_dword s43, s[0:1], 0xe0                             // 000000002C50: C0020AC0 000000E0
	s_load_dword s44, s[0:1], 0xf0                             // 000000002C58: C0020B00 000000F0
	s_load_dword s45, s[0:1], 0x100                            // 000000002C60: C0020B40 00000100
	s_load_dwordx2 s[20:21], s[0:1], 0x110                     // 000000002C68: C0060500 00000110
	s_load_dwordx2 s[24:25], s[0:1], 0x120                     // 000000002C70: C0060600 00000120
	s_load_dword s39, s[0:1], 0x130                            // 000000002C78: C00209C0 00000130
	s_load_dword s40, s[0:1], 0x150                            // 000000002C80: C0020A00 00000150
	v_lshrrev_b32_e32 v1, 10, v0                               // 000000002C88: 2002008A
	v_lshrrev_b32_e32 v2, 10, v1                               // 000000002C8C: 2004028A
	v_and_b32_e32 v2, 0x3ff, v2                                // 000000002C90: 260404FF 000003FF
	v_and_b32_e32 v1, 0x3ff, v1                                // 000000002C98: 260202FF 000003FF
	v_and_b32_e32 v0, 0x3ff, v0                                // 000000002CA0: 260000FF 000003FF
	v_lshrrev_b32_e32 v3, 6, v0                                // 000000002CA8: 20060086
	v_and_b32_e32 v0, 63, v0                                   // 000000002CAC: 260000BF
	s_mov_b32 s47, s2                                          // 000000002CB0: BEAF0002
	s_mov_b32 s48, s3                                          // 000000002CB4: BEB00003
	v_readfirstlane_b32 s46, v3                                // 000000002CB8: 7E5C0503
	s_waitcnt lgkmcnt(0)                                       // 000000002CBC: BF8CC07F
	s_add_u32 s51, s44, 0x7f                                   // 000000002CC0: 8033FF2C 0000007F
	s_lshr_b32 s50, s51, 7                                     // 000000002CC8: 8F328733
	s_mul_i32 s49, s50, s48                                    // 000000002CCC: 92313032
	s_add_i32 s49, s49, s47                                    // 000000002CD0: 81312F31
	s_add_u32 s51, s43, 63                                     // 000000002CD4: 8033BF2B
	s_lshr_b32 s62, s51, 6                                     // 000000002CD8: 8F3E8633
	s_lshl_b32 s62, s62, 5                                     // 000000002CDC: 8E3E853E
	s_mov_b32 s47, 0                                           // 000000002CE0: BEAF0080

0000000000002ce4 <label_0039>:
	s_cmp_lt_i32 s49, s62                                      // 000000002CE4: BF043E31
	s_cbranch_scc1 label_003E                                  // 000000002CE8: BF850003
	s_sub_i32 s49, s49, s62                                    // 000000002CEC: 81B13E31
	s_add_i32 s47, s47, 32                                     // 000000002CF0: 812FA02F
	s_branch label_0039                                        // 000000002CF4: BF82FFFB

0000000000002cf8 <label_003E>:
	s_sub_i32 s50, s50, s47                                    // 000000002CF8: 81B22F32
	s_cmp_lt_i32 s50, 32                                       // 000000002CFC: BF04A032
	s_cbranch_scc1 label_0044                                  // 000000002D00: BF850003
	s_lshr_b32 s48, s49, 5                                     // 000000002D04: 8F308531
	s_and_b32 s62, s49, 31                                     // 000000002D08: 863E9F31
	s_branch label_0064                                        // 000000002D0C: BF820020

0000000000002d10 <label_0044>:
	v_cvt_f32_u32_e32 v4, s50                                  // 000000002D10: 7E080C32
	s_sub_i32 s48, 0, s50                                      // 000000002D14: 81B03280
	v_rcp_iflag_f32_e32 v4, v4                                 // 000000002D18: 7E084704
	s_nop 0                                                    // 000000002D1C: BF800000
	v_mul_f32_e32 v4, 0x4f7ffffe, v4                           // 000000002D20: 0A0808FF 4F7FFFFE
	v_cvt_u32_f32_e32 v4, v4                                   // 000000002D28: 7E080F04
	v_mul_lo_u32 v5, s48, v4                                   // 000000002D2C: D2850005 00020830
	v_mul_hi_u32 v5, v4, v5                                    // 000000002D34: D2860005 00020B04
	v_add_u32_e32 v4, v4, v5                                   // 000000002D3C: 68080B04
	v_mul_hi_u32 v4, s49, v4                                   // 000000002D40: D2860004 00020831
	v_mul_lo_u32 v5, v4, s50                                   // 000000002D48: D2850005 00006504
	v_sub_u32_e32 v7, s49, v5                                  // 000000002D50: 6A0E0A31
	v_add_u32_e32 v6, 1, v4                                    // 000000002D54: 680C0881
	v_cmp_le_u32_e32 vcc, s50, v7                              // 000000002D58: 7D960E32
	v_subrev_u32_e32 v5, s50, v7                               // 000000002D5C: 6C0A0E32
	s_nop 0                                                    // 000000002D60: BF800000
	v_cndmask_b32_e32 v4, v4, v6, vcc                          // 000000002D64: 00080D04
	v_cndmask_b32_e32 v7, v7, v5, vcc                          // 000000002D68: 000E0B07
	v_add_u32_e32 v5, 1, v4                                    // 000000002D6C: 680A0881
	v_cmp_le_u32_e32 vcc, s50, v7                              // 000000002D70: 7D960E32
	s_nop 1                                                    // 000000002D74: BF800001
	v_cndmask_b32_e32 v7, v4, v5, vcc                          // 000000002D78: 000E0B04
	s_nop 3                                                    // 000000002D7C: BF800003
	v_readfirstlane_b32 s48, v7                                // 000000002D80: 7E600507
	s_nop 3                                                    // 000000002D84: BF800003
	s_mul_i32 s62, s50, s48                                    // 000000002D88: 923E3032
	s_sub_i32 s62, s49, s62                                    // 000000002D8C: 81BE3E31

0000000000002d90 <label_0064>:
	s_add_i32 s47, s62, s47                                    // 000000002D90: 812F2F3E
	s_lshr_b32 s37, s37, 1                                     // 000000002D94: 8F258125
	s_mul_i32 s62, s48, 64                                     // 000000002D98: 923EC030
	s_mul_hi_u32 s63, s37, s62                                 // 000000002D9C: 963F3E25
	s_add_u32 s13, s13, s63                                    // 000000002DA0: 800D3F0D
	s_mul_i32 s63, s37, s62                                    // 000000002DA4: 923F3E25
	s_add_u32 s12, s12, s63                                    // 000000002DA8: 800C3F0C
	s_addc_u32 s13, s13, 0                                     // 000000002DAC: 820D800D
	s_sub_i32 s63, s43, s62                                    // 000000002DB0: 81BF3E2B
	s_cmp_lt_u32 s63, 64                                       // 000000002DB4: BF0AC03F
	s_cselect_b32 s62, s63, 64                                 // 000000002DB8: 853EC03F
	s_mul_i32 s14, s37, s62                                    // 000000002DBC: 920E3E25
	s_mov_b32 s15, 0x20000                                     // 000000002DC0: BE8F00FF 00020000
	v_lshrrev_b32_e32 v4, 3, v0                                // 000000002DC8: 20080083
	v_lshrrev_b32_e32 v5, 2, v4                                // 000000002DCC: 200A0882
	v_lshlrev_b32_e32 v5, 4, v5                                // 000000002DD0: 240A0A84
	v_and_b32_e32 v4, 3, v4                                    // 000000002DD4: 26080883
	v_lshrrev_b32_e32 v6, 1, v4                                // 000000002DD8: 200C0881
	v_lshlrev_b32_e32 v6, 2, v6                                // 000000002DDC: 240C0C82
	v_add_u32_e32 v5, v5, v6                                   // 000000002DE0: 680A0D05
	v_and_b32_e32 v4, 1, v4                                    // 000000002DE4: 26080881
	v_add_u32_e32 v5, v5, v4                                   // 000000002DE8: 680A0905
	v_mul_lo_u32 v144, s37, v5                                 // 000000002DEC: D2850090 00020A25
	v_and_b32_e32 v4, 7, v0                                    // 000000002DF4: 26080087
	v_lshlrev_b32_e32 v4, 4, v4                                // 000000002DF8: 24080884
	v_add_u32_e32 v144, v4, v144                               // 000000002DFC: 69212104
	s_lshr_b32 s62, s46, 1                                     // 000000002E00: 8F3E812E
	s_mul_i32 s62, s62, 8                                      // 000000002E04: 923E883E
	s_and_b32 s63, s46, 1                                      // 000000002E08: 863F812E
	s_mul_i32 s63, s63, 2                                      // 000000002E0C: 923F823F
	s_add_u32 s62, s62, s63                                    // 000000002E10: 803E3F3E
	s_mul_i32 s62, s37, s62                                    // 000000002E14: 923E3E25
	v_add_u32_e32 v144, s62, v144                              // 000000002E18: 6921203E
	s_mul_i32 s62, s37, 32                                     // 000000002E1C: 923EA025
	v_add_u32_e32 v145, s62, v144                              // 000000002E20: 6923203E
	s_mul_i32 s64, 0x420, s46                                  // 000000002E24: 92402EFF 00000420
	s_add_u32 s64, 0x1000, s64                                 // 000000002E2C: 804040FF 00001000
	v_and_b32_e32 v4, 15, v0                                   // 000000002E34: 2608008F
	v_lshrrev_b32_e32 v5, 3, v4                                // 000000002E38: 200A0883
	v_mul_i32_i24_e32 v5, 2, v5                                // 000000002E3C: 0C0A0A82
	v_and_b32_e32 v4, 3, v0                                    // 000000002E40: 26080083
	v_lshrrev_b32_e32 v6, 1, v4                                // 000000002E44: 200C0881
	v_add_u32_e32 v4, v5, v6                                   // 000000002E48: 68080D05
	v_mul_i32_i24_e32 v146, 0x420, v4                          // 000000002E4C: 0D2408FF 00000420
	v_and_b32_e32 v4, 7, v0                                    // 000000002E54: 26080087
	v_lshrrev_b32_e32 v5, 2, v4                                // 000000002E58: 200A0882
	v_mul_i32_i24_e32 v5, 0x100, v5                            // 000000002E5C: 0C0A0AFF 00000100
	v_add_u32_e32 v146, v5, v146                               // 000000002E64: 69252505
	v_and_b32_e32 v4, 1, v0                                    // 000000002E68: 26080081
	v_mul_i32_i24_e32 v6, 0x80, v4                             // 000000002E6C: 0C0C08FF 00000080
	v_add_u32_e32 v146, v6, v146                               // 000000002E74: 69252506
	v_lshrrev_b32_e32 v4, 4, v0                                // 000000002E78: 20080084
	v_mul_i32_i24_e32 v4, 16, v4                               // 000000002E7C: 0C080890
	v_add_u32_e32 v146, v4, v146                               // 000000002E80: 69252504
	v_add_u32_e32 v146, 0x1000, v146                           // 000000002E84: 692524FF 00001000
	v_add_u32_e32 v147, 0x2100, v146                           // 000000002E8C: 692724FF 00002100
	v_add_u32_e32 v148, 0x2100, v147                           // 000000002E94: 692926FF 00002100
	v_add_u32_e32 v149, 0x2100, v148                           // 000000002E9C: 692B28FF 00002100
	s_mul_i32 s62, s48, 64                                     // 000000002EA4: 923EC030
	s_mul_hi_u32 s63, s39, s62                                 // 000000002EA8: 963F3E27
	s_add_u32 s21, s21, s63                                    // 000000002EAC: 80153F15
	s_mul_i32 s63, s39, s62                                    // 000000002EB0: 923F3E27
	s_add_u32 s20, s20, s63                                    // 000000002EB4: 80143F14
	s_addc_u32 s21, s21, 0                                     // 000000002EB8: 82158015
	s_add_u32 s63, s43, 31                                     // 000000002EBC: 803F9F2B
	s_lshr_b32 s63, s63, 5                                     // 000000002EC0: 8F3F853F
	s_lshl_b32 s63, s63, 5                                     // 000000002EC4: 8E3F853F
	s_sub_i32 s63, s63, s62                                    // 000000002EC8: 81BF3E3F
	s_cmp_lt_u32 s63, 64                                       // 000000002ECC: BF0AC03F
	s_cselect_b32 s62, s63, 64                                 // 000000002ED0: 853EC03F
	s_mul_i32 s22, s39, s62                                    // 000000002ED4: 92163E27
	s_mov_b32 s23, 0x20000                                     // 000000002ED8: BE9700FF 00020000
	v_lshlrev_b32_e32 v150, 2, v0                              // 000000002EE0: 252C0082
	s_mul_i32 s63, s46, 32                                     // 000000002EE4: 923FA02E
	s_mul_i32 s63, s63, s39                                    // 000000002EE8: 923F273F
	v_add_u32_e32 v150, s63, v150                              // 000000002EEC: 692D2C3F
	s_mul_i32 s65, s46, 0x100                                  // 000000002EF0: 9241FF2E 00000100
	s_add_i32 s65, s65, 0                                      // 000000002EF8: 81418041
	v_lshlrev_b32_e32 v151, 2, v0                              // 000000002EFC: 252E0082
	v_add_u32_e32 v151, 0, v151                                // 000000002F00: 692F2E80
	s_lshr_b32 s38, s38, 1                                     // 000000002F04: 8F268126
	s_mul_i32 s62, s47, 0x80                                   // 000000002F08: 923EFF2F 00000080
	s_mul_hi_u32 s63, s38, s62                                 // 000000002F10: 963F3E26
	s_add_u32 s17, s17, s63                                    // 000000002F14: 80113F11
	s_mul_i32 s63, s38, s62                                    // 000000002F18: 923F3E26
	s_add_u32 s16, s16, s63                                    // 000000002F1C: 80103F10
	s_addc_u32 s17, s17, 0                                     // 000000002F20: 82118011
	s_sub_i32 s63, s44, s62                                    // 000000002F24: 81BF3E2C
	s_cmp_lt_u32 s63, 0x80                                     // 000000002F28: BF0AFF3F 00000080
	s_cselect_b32 s62, s63, 0x80                               // 000000002F30: 853EFF3F 00000080
	s_mul_i32 s18, s38, s62                                    // 000000002F38: 92123E26
	s_mov_b32 s19, 0x20000                                     // 000000002F3C: BE9300FF 00020000
	v_lshlrev_b32_e32 v152, 4, v0                              // 000000002F44: 25300084
	s_mul_i32 s63, s46, 32                                     // 000000002F48: 923FA02E
	s_mul_i32 s62, s63, s38                                    // 000000002F4C: 923E263F
	v_add_u32_e32 v152, s62, v152                              // 000000002F50: 6931303E
	s_mul_i32 s62, 16, s38                                     // 000000002F54: 923E2690
	v_add_u32_e32 v153, s62, v152                              // 000000002F58: 6933303E
	s_mul_i32 s62, s47, 0x80                                   // 000000002F5C: 923EFF2F 00000080
	s_mul_hi_u32 s63, s40, s62                                 // 000000002F64: 963F3E28
	s_add_u32 s25, s25, s63                                    // 000000002F68: 80193F19
	s_mul_i32 s63, s40, s62                                    // 000000002F6C: 923F3E28
	s_add_u32 s24, s24, s63                                    // 000000002F70: 80183F18
	s_addc_u32 s25, s25, 0                                     // 000000002F74: 82198019
	s_sub_i32 s63, s44, s62                                    // 000000002F78: 81BF3E2C
	s_cmp_lt_u32 s63, 0x80                                     // 000000002F7C: BF0AFF3F 00000080
	s_cselect_b32 s62, s63, 0x80                               // 000000002F84: 853EFF3F 00000080
	s_mul_i32 s26, s40, s62                                    // 000000002F8C: 921A3E28
	s_mov_b32 s27, 0x20000                                     // 000000002F90: BE9B00FF 00020000
	v_lshlrev_b32_e32 v154, 2, v0                              // 000000002F98: 25340082
	s_mul_i32 s63, s46, 32                                     // 000000002F9C: 923FA02E
	s_mul_i32 s63, s63, s40                                    // 000000002FA0: 923F283F
	v_add_u32_e32 v154, s63, v154                              // 000000002FA4: 6935343F
	s_mov_b32 s66, 0x80                                        // 000000002FA8: BEC200FF 00000080
	s_mov_b32 s67, 0x800                                       // 000000002FB0: BEC300FF 00000800
	s_mov_b32 s68, 0x100                                       // 000000002FB8: BEC400FF 00000100
	s_mov_b32 s69, 0x100                                       // 000000002FC0: BEC500FF 00000100
	s_mov_b32 s60, 0                                           // 000000002FC8: BEBC0080
	s_mov_b32 s61, s45                                         // 000000002FCC: BEBD002D
	s_add_u32 m0, 0, s65                                       // 000000002FD0: 807C4180
	buffer_load_dword v150, s[20:23], 0 offen lds              // 000000002FD4: E0511000 80050096
	v_accvgpr_write_b32 a0, 0                                  // 000000002FDC: D3D94000 18000080
	v_accvgpr_write_b32 a1, 0                                  // 000000002FE4: D3D94001 18000080
	v_accvgpr_write_b32 a2, 0                                  // 000000002FEC: D3D94002 18000080
	v_accvgpr_write_b32 a3, 0                                  // 000000002FF4: D3D94003 18000080
	v_accvgpr_write_b32 a4, 0                                  // 000000002FFC: D3D94004 18000080
	v_accvgpr_write_b32 a5, 0                                  // 000000003004: D3D94005 18000080
	s_add_u32 m0, 0, s64                                       // 00000000300C: 807C4080
	buffer_load_dwordx4 v144, s[12:15], 0 offen lds            // 000000003010: E05D1000 80030090
	v_accvgpr_write_b32 a6, 0                                  // 000000003018: D3D94006 18000080
	v_accvgpr_write_b32 a7, 0                                  // 000000003020: D3D94007 18000080
	v_accvgpr_write_b32 a8, 0                                  // 000000003028: D3D94008 18000080
	v_accvgpr_write_b32 a9, 0                                  // 000000003030: D3D94009 18000080
	v_accvgpr_write_b32 a10, 0                                 // 000000003038: D3D9400A 18000080
	v_accvgpr_write_b32 a11, 0                                 // 000000003040: D3D9400B 18000080
	s_add_u32 m0, 0x1080, s64                                  // 000000003048: 807C40FF 00001080
	buffer_load_dwordx4 v145, s[12:15], 0 offen lds            // 000000003050: E05D1000 80030091
	v_accvgpr_write_b32 a12, 0                                 // 000000003058: D3D9400C 18000080
	v_accvgpr_write_b32 a13, 0                                 // 000000003060: D3D9400D 18000080
	v_accvgpr_write_b32 a14, 0                                 // 000000003068: D3D9400E 18000080
	v_accvgpr_write_b32 a15, 0                                 // 000000003070: D3D9400F 18000080
	v_accvgpr_write_b32 a16, 0                                 // 000000003078: D3D94010 18000080
	v_accvgpr_write_b32 a17, 0                                 // 000000003080: D3D94011 18000080
	buffer_load_dwordx4 v[72:75], v152, s[16:19], 0 offen      // 000000003088: E05C1000 80044898
	v_accvgpr_write_b32 a18, 0                                 // 000000003090: D3D94012 18000080
	v_accvgpr_write_b32 a19, 0                                 // 000000003098: D3D94013 18000080
	v_accvgpr_write_b32 a20, 0                                 // 0000000030A0: D3D94014 18000080
	v_accvgpr_write_b32 a21, 0                                 // 0000000030A8: D3D94015 18000080
	v_accvgpr_write_b32 a22, 0                                 // 0000000030B0: D3D94016 18000080
	v_accvgpr_write_b32 a23, 0                                 // 0000000030B8: D3D94017 18000080
	buffer_load_dwordx4 v[76:79], v153, s[16:19], 0 offen      // 0000000030C0: E05C1000 80044C99
	v_accvgpr_write_b32 a24, 0                                 // 0000000030C8: D3D94018 18000080
	v_accvgpr_write_b32 a25, 0                                 // 0000000030D0: D3D94019 18000080
	v_accvgpr_write_b32 a26, 0                                 // 0000000030D8: D3D9401A 18000080
	v_accvgpr_write_b32 a27, 0                                 // 0000000030E0: D3D9401B 18000080
	v_accvgpr_write_b32 a28, 0                                 // 0000000030E8: D3D9401C 18000080
	v_accvgpr_write_b32 a29, 0                                 // 0000000030F0: D3D9401D 18000080
	buffer_load_dwordx4 v[80:83], v152, s[16:19], 0 offen offset:1024// 0000000030F8: E05C1400 80045098
	v_accvgpr_write_b32 a30, 0                                 // 000000003100: D3D9401E 18000080
	v_accvgpr_write_b32 a31, 0                                 // 000000003108: D3D9401F 18000080
	buffer_load_dwordx4 v[84:87], v153, s[16:19], 0 offen offset:1024// 000000003110: E05C1400 80045499
	buffer_load_dword v140, v154, s[24:27], 0 offen            // 000000003118: E0501000 80068C9A
	s_add_u32 s62, 0x100, s60                                  // 000000003120: 803E3CFF 00000100
	s_cmp_lt_u32 s62, s61                                      // 000000003128: BF0A3D3E
	s_cselect_b32 s66, s66, 0                                  // 00000000312C: 85428042
	s_cselect_b32 s68, s68, 0                                  // 000000003130: 85448044
	s_add_u32 s12, s12, s66                                    // 000000003134: 800C420C
	s_addc_u32 s13, 0, s13                                     // 000000003138: 820D0D80
	s_sub_u32 s14, s14, s66                                    // 00000000313C: 808E420E
	s_add_u32 s20, s20, s68                                    // 000000003140: 80144414
	s_addc_u32 s21, 0, s21                                     // 000000003144: 82151580
	s_sub_u32 s22, s22, s68                                    // 000000003148: 80964416
	s_add_u32 s63, 0x100, s60                                  // 00000000314C: 803F3CFF 00000100
	s_cmp_lt_u32 s63, s61                                      // 000000003154: BF0A3D3F
	s_cselect_b32 s67, s67, 0                                  // 000000003158: 85438043
	s_cselect_b32 s69, s69, 0                                  // 00000000315C: 85458045
	s_add_u32 s16, s16, s67                                    // 000000003160: 80104310
	s_addc_u32 s17, 0, s17                                     // 000000003164: 82111180
	s_sub_u32 s18, s18, s67                                    // 000000003168: 80924312
	s_add_u32 s24, s24, s69                                    // 00000000316C: 80184518
	s_addc_u32 s25, 0, s25                                     // 000000003170: 82191980
	s_sub_u32 s26, s26, s69                                    // 000000003174: 809A451A
	s_add_u32 m0, 0x400, s65                                   // 000000003178: 807C41FF 00000400
	buffer_load_dword v150, s[20:23], 0 offen lds              // 000000003180: E0511000 80050096
	s_add_u32 m0, 0x2100, s64                                  // 000000003188: 807C40FF 00002100
	buffer_load_dwordx4 v144, s[12:15], 0 offen lds            // 000000003190: E05D1000 80030090
	s_add_u32 m0, 0x3180, s64                                  // 000000003198: 807C40FF 00003180
	buffer_load_dwordx4 v145, s[12:15], 0 offen lds            // 0000000031A0: E05D1000 80030091
	buffer_load_dwordx4 v[88:91], v152, s[16:19], 0 offen      // 0000000031A8: E05C1000 80045898
	buffer_load_dwordx4 v[92:95], v153, s[16:19], 0 offen      // 0000000031B0: E05C1000 80045C99
	buffer_load_dwordx4 v[96:99], v152, s[16:19], 0 offen offset:1024// 0000000031B8: E05C1400 80046098
	buffer_load_dwordx4 v[100:103], v153, s[16:19], 0 offen offset:1024// 0000000031C0: E05C1400 80046499
	buffer_load_dword v141, v154, s[24:27], 0 offen            // 0000000031C8: E0501000 80068D9A
	s_add_u32 s62, 0x200, s60                                  // 0000000031D0: 803E3CFF 00000200
	s_cmp_lt_u32 s62, s61                                      // 0000000031D8: BF0A3D3E
	s_cselect_b32 s66, s66, 0                                  // 0000000031DC: 85428042
	s_cselect_b32 s68, s68, 0                                  // 0000000031E0: 85448044
	s_add_u32 s12, s12, s66                                    // 0000000031E4: 800C420C
	s_addc_u32 s13, 0, s13                                     // 0000000031E8: 820D0D80
	s_sub_u32 s14, s14, s66                                    // 0000000031EC: 808E420E
	s_add_u32 s20, s20, s68                                    // 0000000031F0: 80144414
	s_addc_u32 s21, 0, s21                                     // 0000000031F4: 82151580
	s_sub_u32 s22, s22, s68                                    // 0000000031F8: 80964416
	s_add_u32 s63, 0x200, s60                                  // 0000000031FC: 803F3CFF 00000200
	s_cmp_lt_u32 s63, s61                                      // 000000003204: BF0A3D3F
	s_cselect_b32 s67, s67, 0                                  // 000000003208: 85438043
	s_cselect_b32 s69, s69, 0                                  // 00000000320C: 85458045
	s_add_u32 s16, s16, s67                                    // 000000003210: 80104310
	s_addc_u32 s17, 0, s17                                     // 000000003214: 82111180
	s_sub_u32 s18, s18, s67                                    // 000000003218: 80924312
	s_add_u32 s24, s24, s69                                    // 00000000321C: 80184518
	s_addc_u32 s25, 0, s25                                     // 000000003220: 82191980
	s_sub_u32 s26, s26, s69                                    // 000000003224: 809A451A
	s_add_u32 m0, 0x800, s65                                   // 000000003228: 807C41FF 00000800
	buffer_load_dword v150, s[20:23], 0 offen lds              // 000000003230: E0511000 80050096
	s_add_u32 m0, 0x4200, s64                                  // 000000003238: 807C40FF 00004200
	buffer_load_dwordx4 v144, s[12:15], 0 offen lds            // 000000003240: E05D1000 80030090
	s_add_u32 m0, 0x5280, s64                                  // 000000003248: 807C40FF 00005280
	buffer_load_dwordx4 v145, s[12:15], 0 offen lds            // 000000003250: E05D1000 80030091
	buffer_load_dwordx4 v[104:107], v152, s[16:19], 0 offen    // 000000003258: E05C1000 80046898
	buffer_load_dwordx4 v[108:111], v153, s[16:19], 0 offen    // 000000003260: E05C1000 80046C99
	buffer_load_dwordx4 v[112:115], v152, s[16:19], 0 offen offset:1024// 000000003268: E05C1400 80047098
	buffer_load_dwordx4 v[116:119], v153, s[16:19], 0 offen offset:1024// 000000003270: E05C1400 80047499
	buffer_load_dword v142, v154, s[24:27], 0 offen            // 000000003278: E0501000 80068E9A
	s_add_u32 s62, 0x300, s60                                  // 000000003280: 803E3CFF 00000300
	s_cmp_lt_u32 s62, s61                                      // 000000003288: BF0A3D3E
	s_cselect_b32 s66, s66, 0                                  // 00000000328C: 85428042
	s_cselect_b32 s68, s68, 0                                  // 000000003290: 85448044
	s_add_u32 s12, s12, s66                                    // 000000003294: 800C420C
	s_addc_u32 s13, 0, s13                                     // 000000003298: 820D0D80
	s_sub_u32 s14, s14, s66                                    // 00000000329C: 808E420E
	s_add_u32 s20, s20, s68                                    // 0000000032A0: 80144414
	s_addc_u32 s21, 0, s21                                     // 0000000032A4: 82151580
	s_sub_u32 s22, s22, s68                                    // 0000000032A8: 80964416
	s_add_u32 s63, 0x300, s60                                  // 0000000032AC: 803F3CFF 00000300
	s_cmp_lt_u32 s63, s61                                      // 0000000032B4: BF0A3D3F
	s_cselect_b32 s67, s67, 0                                  // 0000000032B8: 85438043
	s_cselect_b32 s69, s69, 0                                  // 0000000032BC: 85458045
	s_add_u32 s16, s16, s67                                    // 0000000032C0: 80104310
	s_addc_u32 s17, 0, s17                                     // 0000000032C4: 82111180
	s_sub_u32 s18, s18, s67                                    // 0000000032C8: 80924312
	s_add_u32 s24, s24, s69                                    // 0000000032CC: 80184518
	s_addc_u32 s25, 0, s25                                     // 0000000032D0: 82191980
	s_sub_u32 s26, s26, s69                                    // 0000000032D4: 809A451A
	s_waitcnt vmcnt(21)                                        // 0000000032D8: BF8C4F75
	s_barrier                                                  // 0000000032DC: BF8A0000
	ds_read_b128 v[8:11], v146                                 // 0000000032E0: D9FE0000 08000092
	ds_read_b128 v[16:19], v146 offset:64                      // 0000000032E8: D9FE0040 10000092
	ds_read_b128 v[12:15], v146 offset:512                     // 0000000032F0: D9FE0200 0C000092
	ds_read_b128 v[20:23], v146 offset:576                     // 0000000032F8: D9FE0240 14000092
	ds_read_b32 v136, v151                                     // 000000003300: D86C0000 88000097
	ds_read_b128 v[24:27], v146 offset:4224                    // 000000003308: D9FE1080 18000092
	ds_read_b128 v[32:35], v146 offset:4288                    // 000000003310: D9FE10C0 20000092
	ds_read_b128 v[28:31], v146 offset:4736                    // 000000003318: D9FE1280 1C000092
	ds_read_b128 v[36:39], v146 offset:4800                    // 000000003320: D9FE12C0 24000092
	ds_read_b32 v137, v151 offset:256                          // 000000003328: D86C0100 89000097
	s_nop 0                                                    // 000000003330: BF800000
	s_nop 0                                                    // 000000003334: BF800000
	;; [unrolled: 1-line block ×3, first 2 shown]
	s_nop 0                                                    // 00000000333C: BF800000
	s_nop 0                                                    // 000000003340: BF800000
	s_lshl_b32 s36, s36, 1                                     // 000000003344: 8E248124
	s_mul_i32 s62, s48, 64                                     // 000000003348: 923EC030
	s_mul_hi_u32 s63, s36, s62                                 // 00000000334C: 963F3E24
	s_add_u32 s5, s5, s63                                      // 000000003350: 80053F05
	s_mul_i32 s63, s36, s62                                    // 000000003354: 923F3E24
	s_add_u32 s4, s4, s63                                      // 000000003358: 80043F04
	s_addc_u32 s5, s5, 0                                       // 00000000335C: 82058005
	s_mul_i32 s63, s47, 0x80                                   // 000000003360: 923FFF2F 00000080
	s_lshl_b32 s63, s63, 1                                     // 000000003368: 8E3F813F
	s_add_u32 s4, s4, s63                                      // 00000000336C: 80043F04
	s_addc_u32 s5, s5, 0                                       // 000000003370: 82058005
	s_sub_i32 s62, s43, s62                                    // 000000003374: 81BE3E2B
	s_cmp_lt_u32 s62, 64                                       // 000000003378: BF0AC03E
	s_cselect_b32 s62, s62, 64                                 // 00000000337C: 853EC03E
	s_mul_i32 s62, s36, s62                                    // 000000003380: 923E3E24
	s_sub_i32 s6, s62, s63                                     // 000000003384: 81863F3E
	s_mov_b32 s7, 0x20000                                      // 000000003388: BE8700FF 00020000
	s_mul_i32 s62, s46, 32                                     // 000000003390: 923EA02E
	s_lshl_b32 s62, s62, 1                                     // 000000003394: 8E3E813E
	v_lshrrev_b32_e32 v4, 5, v0                                // 000000003398: 20080085
	v_mul_i32_i24_e32 v4, 16, v4                               // 00000000339C: 0C080890
	v_lshrrev_b32_e32 v5, 4, v0                                // 0000000033A0: 200A0084
	v_and_b32_e32 v5, 1, v5                                    // 0000000033A4: 260A0A81
	v_mul_i32_i24_e32 v5, 32, v5                               // 0000000033A8: 0C0A0AA0
	v_add_u32_e32 v4, v4, v5                                   // 0000000033AC: 68080B04
	v_and_b32_e32 v5, 15, v0                                   // 0000000033B0: 260A008F
	v_mul_lo_u32 v155, s36, v5                                 // 0000000033B4: D285009B 00020A24
	v_add_u32_e32 v155, s62, v155                              // 0000000033BC: 6937363E
	v_add_u32_e32 v155, v4, v155                               // 0000000033C0: 69373704
	s_cmp_lt_i32 s46, 2                                        // 0000000033C4: BF04822E
	s_cbranch_scc0 label_040A                                  // 0000000033C8: BF840217

00000000000033cc <label_01F3>:
	s_waitcnt vmcnt(13) lgkmcnt(5)                             // 0000000033CC: BF8C057D
	s_barrier                                                  // 0000000033D0: BF8A0000
	v_mfma_scale_f32_16x16x128_f8f6f4 a[0:3], v[72:75], v[8:11], a[0:3], v140, v136 op_sel_hi:[0,0,0] cbsz:4 blgp:4// 0000000033D4: D3AC6000 0003118C D3AD8C00 84021148
	ds_read_b128 v[40:43], v147                                // 0000000033E4: D9FE0000 28000093
	v_mfma_scale_f32_16x16x128_f8f6f4 a[4:7], v[72:75], v[12:15], a[4:7], v140, v136 op_sel_hi:[0,0,0] cbsz:4 blgp:4// 0000000033EC: D3AC7000 0003118C D3AD8C04 84121948
	s_add_u32 m0, 0xc00, s65                                   // 0000000033FC: 807C41FF 00000C00
	buffer_load_dword v150, s[20:23], 0 offen lds              // 000000003404: E0511000 80050096
	v_mfma_scale_f32_16x16x128_f8f6f4 a[8:11], v[76:79], v[8:11], a[8:11], v140, v136 op_sel_hi:[0,0,0] cbsz:4 blgp:4// 00000000340C: D3AC6800 0003118C D3AD8C08 8422114C
	ds_read_b128 v[48:51], v147 offset:64                      // 00000000341C: D9FE0040 30000093
	v_mfma_scale_f32_16x16x128_f8f6f4 a[12:15], v[76:79], v[12:15], a[12:15], v140, v136 op_sel_hi:[0,0,0] cbsz:4 blgp:4// 000000003424: D3AC7800 0003118C D3AD8C0C 8432194C
	s_add_u32 m0, 0x6300, s64                                  // 000000003434: 807C40FF 00006300
	buffer_load_dwordx4 v144, s[12:15], 0 offen lds            // 00000000343C: E05D1000 80030090
	v_mfma_scale_f32_16x16x128_f8f6f4 a[0:3], v[80:83], v[16:19], a[0:3], v140, v136 op_sel_hi:[0,0,0] cbsz:4 blgp:4// 000000003444: D3AC6000 1803118C D3AD8C00 84022150
	ds_read_b128 v[44:47], v147 offset:512                     // 000000003454: D9FE0200 2C000093
	v_mfma_scale_f32_16x16x128_f8f6f4 a[4:7], v[80:83], v[20:23], a[4:7], v140, v136 op_sel_hi:[0,0,0] cbsz:4 blgp:4// 00000000345C: D3AC7000 1803118C D3AD8C04 84122950
	s_add_u32 m0, 0x7380, s64                                  // 00000000346C: 807C40FF 00007380
	buffer_load_dwordx4 v145, s[12:15], 0 offen lds            // 000000003474: E05D1000 80030091
	v_mfma_scale_f32_16x16x128_f8f6f4 a[8:11], v[84:87], v[16:19], a[8:11], v140, v136 op_sel_hi:[0,0,0] cbsz:4 blgp:4// 00000000347C: D3AC6800 1803118C D3AD8C08 84222154
	s_add_u32 s62, 0x400, s60                                  // 00000000348C: 803E3CFF 00000400
	ds_read_b128 v[52:55], v147 offset:576                     // 000000003494: D9FE0240 34000093
	v_mfma_scale_f32_16x16x128_f8f6f4 a[12:15], v[84:87], v[20:23], a[12:15], v140, v136 op_sel_hi:[0,0,0] cbsz:4 blgp:4// 00000000349C: D3AC7800 1803118C D3AD8C0C 84322954
	s_cmp_lt_u32 s62, s61                                      // 0000000034AC: BF0A3D3E
	buffer_load_dwordx4 v[120:123], v152, s[16:19], 0 offen    // 0000000034B0: E05C1000 80047898
	ds_read_b32 v138, v151 offset:1024                         // 0000000034B8: D86C0400 8A000097
	s_waitcnt lgkmcnt(5)                                       // 0000000034C0: BF8CC57F
	v_mfma_scale_f32_16x16x128_f8f6f4 a[16:19], v[72:75], v[24:27], a[16:19], v140, v137 op_sel_hi:[0,0,0] cbsz:4 blgp:4// 0000000034C4: D3AC6000 0003138C D3AD8C10 84423148
	s_cselect_b32 s66, s66, 0                                  // 0000000034D4: 85428042
	ds_read_b128 v[56:59], v147 offset:4224                    // 0000000034D8: D9FE1080 38000093
	v_mfma_scale_f32_16x16x128_f8f6f4 a[20:23], v[72:75], v[28:31], a[20:23], v140, v137 op_sel_hi:[0,0,0] cbsz:4 blgp:4// 0000000034E0: D3AC7000 0003138C D3AD8C14 84523948
	s_cselect_b32 s68, s68, 0                                  // 0000000034F0: 85448044
	buffer_load_dwordx4 v[124:127], v153, s[16:19], 0 offen    // 0000000034F4: E05C1000 80047C99
	v_mfma_scale_f32_16x16x128_f8f6f4 a[24:27], v[76:79], v[24:27], a[24:27], v140, v137 op_sel_hi:[0,0,0] cbsz:4 blgp:4// 0000000034FC: D3AC6800 0003138C D3AD8C18 8462314C
	s_add_u32 s12, s12, s66                                    // 00000000350C: 800C420C
	ds_read_b128 v[64:67], v147 offset:4288                    // 000000003510: D9FE10C0 40000093
	v_mfma_scale_f32_16x16x128_f8f6f4 a[28:31], v[76:79], v[28:31], a[28:31], v140, v137 op_sel_hi:[0,0,0] cbsz:4 blgp:4// 000000003518: D3AC7800 0003138C D3AD8C1C 8472394C
	s_addc_u32 s13, 0, s13                                     // 000000003528: 820D0D80
	buffer_load_dwordx4 v[128:131], v152, s[16:19], 0 offen offset:1024// 00000000352C: E05C1400 80048098
	v_mfma_scale_f32_16x16x128_f8f6f4 a[16:19], v[80:83], v[32:35], a[16:19], v140, v137 op_sel_hi:[0,0,0] cbsz:4 blgp:4// 000000003534: D3AC6000 1803138C D3AD8C10 84424150
	s_sub_u32 s14, s14, s66                                    // 000000003544: 808E420E
	ds_read_b128 v[60:63], v147 offset:4736                    // 000000003548: D9FE1280 3C000093
	v_mfma_scale_f32_16x16x128_f8f6f4 a[20:23], v[80:83], v[36:39], a[20:23], v140, v137 op_sel_hi:[0,0,0] cbsz:4 blgp:4// 000000003550: D3AC7000 1803138C D3AD8C14 84524950
	s_add_u32 s20, s20, s68                                    // 000000003560: 80144414
	buffer_load_dwordx4 v[132:135], v153, s[16:19], 0 offen offset:1024// 000000003564: E05C1400 80048499
	v_mfma_scale_f32_16x16x128_f8f6f4 a[24:27], v[84:87], v[32:35], a[24:27], v140, v137 op_sel_hi:[0,0,0] cbsz:4 blgp:4// 00000000356C: D3AC6800 1803138C D3AD8C18 84624154
	s_addc_u32 s21, 0, s21                                     // 00000000357C: 82151580
	ds_read_b128 v[68:71], v147 offset:4800                    // 000000003580: D9FE12C0 44000093
	v_mfma_scale_f32_16x16x128_f8f6f4 a[28:31], v[84:87], v[36:39], a[28:31], v140, v137 op_sel_hi:[0,0,0] cbsz:4 blgp:4// 000000003588: D3AC7800 1803138C D3AD8C1C 84724954
	s_sub_u32 s22, s22, s68                                    // 000000003598: 80964416
	buffer_load_dword v143, v154, s[24:27], 0 offen            // 00000000359C: E0501000 80068F9A
	ds_read_b32 v139, v151 offset:1280                         // 0000000035A4: D86C0500 8B000097
	s_add_u32 s63, 0x400, s60                                  // 0000000035AC: 803F3CFF 00000400
	s_cmp_lt_u32 s63, s61                                      // 0000000035B4: BF0A3D3F
	s_cselect_b32 s67, s67, 0                                  // 0000000035B8: 85438043
	s_cselect_b32 s69, s69, 0                                  // 0000000035BC: 85458045
	s_add_u32 s16, s16, s67                                    // 0000000035C0: 80104310
	s_addc_u32 s17, 0, s17                                     // 0000000035C4: 82111180
	s_sub_u32 s18, s18, s67                                    // 0000000035C8: 80924312
	s_add_u32 s24, s24, s69                                    // 0000000035CC: 80184518
	s_addc_u32 s25, 0, s25                                     // 0000000035D0: 82191980
	s_sub_u32 s26, s26, s69                                    // 0000000035D4: 809A451A
	s_addk_i32 s60, 0x100                                      // 0000000035D8: B73C0100
	s_cmp_lt_i32 s60, s61                                      // 0000000035DC: BF043D3C
	s_cbranch_scc0 label_0621                                  // 0000000035E0: BF8403A8
	s_waitcnt vmcnt(13) lgkmcnt(5)                             // 0000000035E4: BF8C057D
	s_barrier                                                  // 0000000035E8: BF8A0000
	v_mfma_scale_f32_16x16x128_f8f6f4 a[0:3], v[88:91], v[40:43], a[0:3], v141, v138 op_sel_hi:[0,0,0] cbsz:4 blgp:4// 0000000035EC: D3AC6000 0003158D D3AD8C00 84025158
	ds_read_b128 v[8:11], v148                                 // 0000000035FC: D9FE0000 08000094
	v_mfma_scale_f32_16x16x128_f8f6f4 a[4:7], v[88:91], v[44:47], a[4:7], v141, v138 op_sel_hi:[0,0,0] cbsz:4 blgp:4// 000000003604: D3AC7000 0003158D D3AD8C04 84125958
	s_add_u32 m0, 0, s65                                       // 000000003614: 807C4180
	buffer_load_dword v150, s[20:23], 0 offen lds              // 000000003618: E0511000 80050096
	v_mfma_scale_f32_16x16x128_f8f6f4 a[8:11], v[92:95], v[40:43], a[8:11], v141, v138 op_sel_hi:[0,0,0] cbsz:4 blgp:4// 000000003620: D3AC6800 0003158D D3AD8C08 8422515C
	ds_read_b128 v[16:19], v148 offset:64                      // 000000003630: D9FE0040 10000094
	v_mfma_scale_f32_16x16x128_f8f6f4 a[12:15], v[92:95], v[44:47], a[12:15], v141, v138 op_sel_hi:[0,0,0] cbsz:4 blgp:4// 000000003638: D3AC7800 0003158D D3AD8C0C 8432595C
	s_add_u32 m0, 0, s64                                       // 000000003648: 807C4080
	buffer_load_dwordx4 v144, s[12:15], 0 offen lds            // 00000000364C: E05D1000 80030090
	v_mfma_scale_f32_16x16x128_f8f6f4 a[0:3], v[96:99], v[48:51], a[0:3], v141, v138 op_sel_hi:[0,0,0] cbsz:4 blgp:4// 000000003654: D3AC6000 1803158D D3AD8C00 84026160
	ds_read_b128 v[12:15], v148 offset:512                     // 000000003664: D9FE0200 0C000094
	v_mfma_scale_f32_16x16x128_f8f6f4 a[4:7], v[96:99], v[52:55], a[4:7], v141, v138 op_sel_hi:[0,0,0] cbsz:4 blgp:4// 00000000366C: D3AC7000 1803158D D3AD8C04 84126960
	s_add_u32 m0, 0x1080, s64                                  // 00000000367C: 807C40FF 00001080
	buffer_load_dwordx4 v145, s[12:15], 0 offen lds            // 000000003684: E05D1000 80030091
	v_mfma_scale_f32_16x16x128_f8f6f4 a[8:11], v[100:103], v[48:51], a[8:11], v141, v138 op_sel_hi:[0,0,0] cbsz:4 blgp:4// 00000000368C: D3AC6800 1803158D D3AD8C08 84226164
	s_add_u32 s62, 0x400, s60                                  // 00000000369C: 803E3CFF 00000400
	ds_read_b128 v[20:23], v148 offset:576                     // 0000000036A4: D9FE0240 14000094
	v_mfma_scale_f32_16x16x128_f8f6f4 a[12:15], v[100:103], v[52:55], a[12:15], v141, v138 op_sel_hi:[0,0,0] cbsz:4 blgp:4// 0000000036AC: D3AC7800 1803158D D3AD8C0C 84326964
	s_cmp_lt_u32 s62, s61                                      // 0000000036BC: BF0A3D3E
	buffer_load_dwordx4 v[72:75], v152, s[16:19], 0 offen      // 0000000036C0: E05C1000 80044898
	ds_read_b32 v136, v151 offset:2048                         // 0000000036C8: D86C0800 88000097
	s_waitcnt lgkmcnt(5)                                       // 0000000036D0: BF8CC57F
	v_mfma_scale_f32_16x16x128_f8f6f4 a[16:19], v[88:91], v[56:59], a[16:19], v141, v139 op_sel_hi:[0,0,0] cbsz:4 blgp:4// 0000000036D4: D3AC6000 0003178D D3AD8C10 84427158
	s_cselect_b32 s66, s66, 0                                  // 0000000036E4: 85428042
	ds_read_b128 v[24:27], v148 offset:4224                    // 0000000036E8: D9FE1080 18000094
	v_mfma_scale_f32_16x16x128_f8f6f4 a[20:23], v[88:91], v[60:63], a[20:23], v141, v139 op_sel_hi:[0,0,0] cbsz:4 blgp:4// 0000000036F0: D3AC7000 0003178D D3AD8C14 84527958
	s_cselect_b32 s68, s68, 0                                  // 000000003700: 85448044
	buffer_load_dwordx4 v[76:79], v153, s[16:19], 0 offen      // 000000003704: E05C1000 80044C99
	v_mfma_scale_f32_16x16x128_f8f6f4 a[24:27], v[92:95], v[56:59], a[24:27], v141, v139 op_sel_hi:[0,0,0] cbsz:4 blgp:4// 00000000370C: D3AC6800 0003178D D3AD8C18 8462715C
	s_add_u32 s12, s12, s66                                    // 00000000371C: 800C420C
	ds_read_b128 v[32:35], v148 offset:4288                    // 000000003720: D9FE10C0 20000094
	v_mfma_scale_f32_16x16x128_f8f6f4 a[28:31], v[92:95], v[60:63], a[28:31], v141, v139 op_sel_hi:[0,0,0] cbsz:4 blgp:4// 000000003728: D3AC7800 0003178D D3AD8C1C 8472795C
	s_addc_u32 s13, 0, s13                                     // 000000003738: 820D0D80
	buffer_load_dwordx4 v[80:83], v152, s[16:19], 0 offen offset:1024// 00000000373C: E05C1400 80045098
	v_mfma_scale_f32_16x16x128_f8f6f4 a[16:19], v[96:99], v[64:67], a[16:19], v141, v139 op_sel_hi:[0,0,0] cbsz:4 blgp:4// 000000003744: D3AC6000 1803178D D3AD8C10 84428160
	s_sub_u32 s14, s14, s66                                    // 000000003754: 808E420E
	ds_read_b128 v[28:31], v148 offset:4736                    // 000000003758: D9FE1280 1C000094
	v_mfma_scale_f32_16x16x128_f8f6f4 a[20:23], v[96:99], v[68:71], a[20:23], v141, v139 op_sel_hi:[0,0,0] cbsz:4 blgp:4// 000000003760: D3AC7000 1803178D D3AD8C14 84528960
	s_add_u32 s20, s20, s68                                    // 000000003770: 80144414
	buffer_load_dwordx4 v[84:87], v153, s[16:19], 0 offen offset:1024// 000000003774: E05C1400 80045499
	v_mfma_scale_f32_16x16x128_f8f6f4 a[24:27], v[100:103], v[64:67], a[24:27], v141, v139 op_sel_hi:[0,0,0] cbsz:4 blgp:4// 00000000377C: D3AC6800 1803178D D3AD8C18 84628164
	s_addc_u32 s21, 0, s21                                     // 00000000378C: 82151580
	ds_read_b128 v[36:39], v148 offset:4800                    // 000000003790: D9FE12C0 24000094
	v_mfma_scale_f32_16x16x128_f8f6f4 a[28:31], v[100:103], v[68:71], a[28:31], v141, v139 op_sel_hi:[0,0,0] cbsz:4 blgp:4// 000000003798: D3AC7800 1803178D D3AD8C1C 84728964
	s_sub_u32 s22, s22, s68                                    // 0000000037A8: 80964416
	buffer_load_dword v140, v154, s[24:27], 0 offen            // 0000000037AC: E0501000 80068C9A
	ds_read_b32 v137, v151 offset:2304                         // 0000000037B4: D86C0900 89000097
	s_add_u32 s63, 0x400, s60                                  // 0000000037BC: 803F3CFF 00000400
	s_cmp_lt_u32 s63, s61                                      // 0000000037C4: BF0A3D3F
	s_cselect_b32 s67, s67, 0                                  // 0000000037C8: 85438043
	s_cselect_b32 s69, s69, 0                                  // 0000000037CC: 85458045
	s_add_u32 s16, s16, s67                                    // 0000000037D0: 80104310
	s_addc_u32 s17, 0, s17                                     // 0000000037D4: 82111180
	s_sub_u32 s18, s18, s67                                    // 0000000037D8: 80924312
	s_add_u32 s24, s24, s69                                    // 0000000037DC: 80184518
	s_addc_u32 s25, 0, s25                                     // 0000000037E0: 82191980
	s_sub_u32 s26, s26, s69                                    // 0000000037E4: 809A451A
	s_addk_i32 s60, 0x100                                      // 0000000037E8: B73C0100
	s_cmp_lt_i32 s60, s61                                      // 0000000037EC: BF043D3C
	s_cbranch_scc0 label_0621                                  // 0000000037F0: BF840324
	s_waitcnt vmcnt(13) lgkmcnt(5)                             // 0000000037F4: BF8C057D
	s_barrier                                                  // 0000000037F8: BF8A0000
	v_mfma_scale_f32_16x16x128_f8f6f4 a[0:3], v[104:107], v[8:11], a[0:3], v142, v136 op_sel_hi:[0,0,0] cbsz:4 blgp:4// 0000000037FC: D3AC6000 0003118E D3AD8C00 84021168
	ds_read_b128 v[40:43], v149                                // 00000000380C: D9FE0000 28000095
	v_mfma_scale_f32_16x16x128_f8f6f4 a[4:7], v[104:107], v[12:15], a[4:7], v142, v136 op_sel_hi:[0,0,0] cbsz:4 blgp:4// 000000003814: D3AC7000 0003118E D3AD8C04 84121968
	s_add_u32 m0, 0x400, s65                                   // 000000003824: 807C41FF 00000400
	buffer_load_dword v150, s[20:23], 0 offen lds              // 00000000382C: E0511000 80050096
	v_mfma_scale_f32_16x16x128_f8f6f4 a[8:11], v[108:111], v[8:11], a[8:11], v142, v136 op_sel_hi:[0,0,0] cbsz:4 blgp:4// 000000003834: D3AC6800 0003118E D3AD8C08 8422116C
	ds_read_b128 v[48:51], v149 offset:64                      // 000000003844: D9FE0040 30000095
	v_mfma_scale_f32_16x16x128_f8f6f4 a[12:15], v[108:111], v[12:15], a[12:15], v142, v136 op_sel_hi:[0,0,0] cbsz:4 blgp:4// 00000000384C: D3AC7800 0003118E D3AD8C0C 8432196C
	s_add_u32 m0, 0x2100, s64                                  // 00000000385C: 807C40FF 00002100
	buffer_load_dwordx4 v144, s[12:15], 0 offen lds            // 000000003864: E05D1000 80030090
	v_mfma_scale_f32_16x16x128_f8f6f4 a[0:3], v[112:115], v[16:19], a[0:3], v142, v136 op_sel_hi:[0,0,0] cbsz:4 blgp:4// 00000000386C: D3AC6000 1803118E D3AD8C00 84022170
	ds_read_b128 v[44:47], v149 offset:512                     // 00000000387C: D9FE0200 2C000095
	v_mfma_scale_f32_16x16x128_f8f6f4 a[4:7], v[112:115], v[20:23], a[4:7], v142, v136 op_sel_hi:[0,0,0] cbsz:4 blgp:4// 000000003884: D3AC7000 1803118E D3AD8C04 84122970
	s_add_u32 m0, 0x3180, s64                                  // 000000003894: 807C40FF 00003180
	buffer_load_dwordx4 v145, s[12:15], 0 offen lds            // 00000000389C: E05D1000 80030091
	v_mfma_scale_f32_16x16x128_f8f6f4 a[8:11], v[116:119], v[16:19], a[8:11], v142, v136 op_sel_hi:[0,0,0] cbsz:4 blgp:4// 0000000038A4: D3AC6800 1803118E D3AD8C08 84222174
	s_add_u32 s62, 0x400, s60                                  // 0000000038B4: 803E3CFF 00000400
	ds_read_b128 v[52:55], v149 offset:576                     // 0000000038BC: D9FE0240 34000095
	v_mfma_scale_f32_16x16x128_f8f6f4 a[12:15], v[116:119], v[20:23], a[12:15], v142, v136 op_sel_hi:[0,0,0] cbsz:4 blgp:4// 0000000038C4: D3AC3800 1803118E D3AD8C0C 84322974
	s_cmp_lt_u32 s62, s61                                      // 0000000038D4: BF0A3D3E
	buffer_load_dwordx4 v[88:91], v152, s[16:19], 0 offen      // 0000000038D8: E05C1000 80045898
	ds_read_b32 v138, v151 offset:3072                         // 0000000038E0: D86C0C00 8A000097
	s_waitcnt lgkmcnt(5)                                       // 0000000038E8: BF8CC57F
	v_mfma_scale_f32_16x16x128_f8f6f4 a[16:19], v[104:107], v[24:27], a[16:19], v142, v137 op_sel_hi:[0,0,0] cbsz:4 blgp:4// 0000000038EC: D3AC6000 0003138E D3AD8C10 84423168
	s_cselect_b32 s66, s66, 0                                  // 0000000038FC: 85428042
	ds_read_b128 v[56:59], v149 offset:4224                    // 000000003900: D9FE1080 38000095
	v_mfma_scale_f32_16x16x128_f8f6f4 a[20:23], v[104:107], v[28:31], a[20:23], v142, v137 op_sel_hi:[0,0,0] cbsz:4 blgp:4// 000000003908: D3AC7000 0003138E D3AD8C14 84523968
	s_cselect_b32 s68, s68, 0                                  // 000000003918: 85448044
	buffer_load_dwordx4 v[92:95], v153, s[16:19], 0 offen      // 00000000391C: E05C1000 80045C99
	v_mfma_scale_f32_16x16x128_f8f6f4 a[24:27], v[108:111], v[24:27], a[24:27], v142, v137 op_sel_hi:[0,0,0] cbsz:4 blgp:4// 000000003924: D3AC6800 0003138E D3AD8C18 8462316C
	s_add_u32 s12, s12, s66                                    // 000000003934: 800C420C
	ds_read_b128 v[64:67], v149 offset:4288                    // 000000003938: D9FE10C0 40000095
	v_mfma_scale_f32_16x16x128_f8f6f4 a[28:31], v[108:111], v[28:31], a[28:31], v142, v137 op_sel_hi:[0,0,0] cbsz:4 blgp:4// 000000003940: D3AC7800 0003138E D3AD8C1C 8472396C
	s_addc_u32 s13, 0, s13                                     // 000000003950: 820D0D80
	buffer_load_dwordx4 v[96:99], v152, s[16:19], 0 offen offset:1024// 000000003954: E05C1400 80046098
	v_mfma_scale_f32_16x16x128_f8f6f4 a[16:19], v[112:115], v[32:35], a[16:19], v142, v137 op_sel_hi:[0,0,0] cbsz:4 blgp:4// 00000000395C: D3AC6000 1803138E D3AD8C10 84424170
	s_sub_u32 s14, s14, s66                                    // 00000000396C: 808E420E
	ds_read_b128 v[60:63], v149 offset:4736                    // 000000003970: D9FE1280 3C000095
	v_mfma_scale_f32_16x16x128_f8f6f4 a[20:23], v[112:115], v[36:39], a[20:23], v142, v137 op_sel_hi:[0,0,0] cbsz:4 blgp:4// 000000003978: D3AC7000 1803138E D3AD8C14 84524970
	s_add_u32 s20, s20, s68                                    // 000000003988: 80144414
	buffer_load_dwordx4 v[100:103], v153, s[16:19], 0 offen offset:1024// 00000000398C: E05C1400 80046499
	v_mfma_scale_f32_16x16x128_f8f6f4 a[24:27], v[116:119], v[32:35], a[24:27], v142, v137 op_sel_hi:[0,0,0] cbsz:4 blgp:4// 000000003994: D3AC6800 1803138E D3AD8C18 84624174
	s_addc_u32 s21, 0, s21                                     // 0000000039A4: 82151580
	ds_read_b128 v[68:71], v149 offset:4800                    // 0000000039A8: D9FE12C0 44000095
	v_mfma_scale_f32_16x16x128_f8f6f4 a[28:31], v[116:119], v[36:39], a[28:31], v142, v137 op_sel_hi:[0,0,0] cbsz:4 blgp:4// 0000000039B0: D3AC7800 1803138E D3AD8C1C 84724974
	s_sub_u32 s22, s22, s68                                    // 0000000039C0: 80964416
	buffer_load_dword v141, v154, s[24:27], 0 offen            // 0000000039C4: E0501000 80068D9A
	ds_read_b32 v139, v151 offset:3328                         // 0000000039CC: D86C0D00 8B000097
	s_add_u32 s63, 0x400, s60                                  // 0000000039D4: 803F3CFF 00000400
	s_cmp_lt_u32 s63, s61                                      // 0000000039DC: BF0A3D3F
	s_cselect_b32 s67, s67, 0                                  // 0000000039E0: 85438043
	s_cselect_b32 s69, s69, 0                                  // 0000000039E4: 85458045
	s_add_u32 s16, s16, s67                                    // 0000000039E8: 80104310
	s_addc_u32 s17, 0, s17                                     // 0000000039EC: 82111180
	s_sub_u32 s18, s18, s67                                    // 0000000039F0: 80924312
	s_add_u32 s24, s24, s69                                    // 0000000039F4: 80184518
	s_addc_u32 s25, 0, s25                                     // 0000000039F8: 82191980
	s_sub_u32 s26, s26, s69                                    // 0000000039FC: 809A451A
	s_addk_i32 s60, 0x100                                      // 000000003A00: B73C0100
	s_cmp_lt_i32 s60, s61                                      // 000000003A04: BF043D3C
	s_cbranch_scc0 label_0621                                  // 000000003A08: BF84029E
	s_waitcnt vmcnt(13) lgkmcnt(5)                             // 000000003A0C: BF8C057D
	s_barrier                                                  // 000000003A10: BF8A0000
	v_mfma_scale_f32_16x16x128_f8f6f4 a[0:3], v[120:123], v[40:43], a[0:3], v143, v138 op_sel_hi:[0,0,0] cbsz:4 blgp:4// 000000003A14: D3AC6000 0003158F D3AD8C00 84025178
	ds_read_b128 v[8:11], v146                                 // 000000003A24: D9FE0000 08000092
	v_mfma_scale_f32_16x16x128_f8f6f4 a[4:7], v[120:123], v[44:47], a[4:7], v143, v138 op_sel_hi:[0,0,0] cbsz:4 blgp:4// 000000003A2C: D3AC7000 0003158F D3AD8C04 84125978
	s_add_u32 m0, 0x800, s65                                   // 000000003A3C: 807C41FF 00000800
	buffer_load_dword v150, s[20:23], 0 offen lds              // 000000003A44: E0511000 80050096
	v_mfma_scale_f32_16x16x128_f8f6f4 a[8:11], v[124:127], v[40:43], a[8:11], v143, v138 op_sel_hi:[0,0,0] cbsz:4 blgp:4// 000000003A4C: D3AC6800 0003158F D3AD8C08 8422517C
	ds_read_b128 v[16:19], v146 offset:64                      // 000000003A5C: D9FE0040 10000092
	v_mfma_scale_f32_16x16x128_f8f6f4 a[12:15], v[124:127], v[44:47], a[12:15], v143, v138 op_sel_hi:[0,0,0] cbsz:4 blgp:4// 000000003A64: D3AC7800 0003158F D3AD8C0C 8432597C
	s_add_u32 m0, 0x4200, s64                                  // 000000003A74: 807C40FF 00004200
	buffer_load_dwordx4 v144, s[12:15], 0 offen lds            // 000000003A7C: E05D1000 80030090
	v_mfma_scale_f32_16x16x128_f8f6f4 a[0:3], v[128:131], v[48:51], a[0:3], v143, v138 op_sel_hi:[0,0,0] cbsz:4 blgp:4// 000000003A84: D3AC6000 1803158F D3AD8C00 84026180
	ds_read_b128 v[12:15], v146 offset:512                     // 000000003A94: D9FE0200 0C000092
	v_mfma_scale_f32_16x16x128_f8f6f4 a[4:7], v[128:131], v[52:55], a[4:7], v143, v138 op_sel_hi:[0,0,0] cbsz:4 blgp:4// 000000003A9C: D3AC7000 1803158F D3AD8C04 84126980
	s_add_u32 m0, 0x5280, s64                                  // 000000003AAC: 807C40FF 00005280
	buffer_load_dwordx4 v145, s[12:15], 0 offen lds            // 000000003AB4: E05D1000 80030091
	v_mfma_scale_f32_16x16x128_f8f6f4 a[8:11], v[132:135], v[48:51], a[8:11], v143, v138 op_sel_hi:[0,0,0] cbsz:4 blgp:4// 000000003ABC: D3AC6800 1803158F D3AD8C08 84226184
	s_add_u32 s62, 0x400, s60                                  // 000000003ACC: 803E3CFF 00000400
	ds_read_b128 v[20:23], v146 offset:576                     // 000000003AD4: D9FE0240 14000092
	v_mfma_scale_f32_16x16x128_f8f6f4 a[12:15], v[132:135], v[52:55], a[12:15], v143, v138 op_sel_hi:[0,0,0] cbsz:4 blgp:4// 000000003ADC: D3AC7800 1803158F D3AD8C0C 84326984
	s_cmp_lt_u32 s62, s61                                      // 000000003AEC: BF0A3D3E
	buffer_load_dwordx4 v[104:107], v152, s[16:19], 0 offen    // 000000003AF0: E05C1000 80046898
	ds_read_b32 v136, v151                                     // 000000003AF8: D86C0000 88000097
	s_waitcnt lgkmcnt(5)                                       // 000000003B00: BF8CC57F
	v_mfma_scale_f32_16x16x128_f8f6f4 a[16:19], v[120:123], v[56:59], a[16:19], v143, v139 op_sel_hi:[0,0,0] cbsz:4 blgp:4// 000000003B04: D3AC6000 0003178F D3AD8C10 84427178
	s_cselect_b32 s66, s66, 0                                  // 000000003B14: 85428042
	ds_read_b128 v[24:27], v146 offset:4224                    // 000000003B18: D9FE1080 18000092
	v_mfma_scale_f32_16x16x128_f8f6f4 a[20:23], v[120:123], v[60:63], a[20:23], v143, v139 op_sel_hi:[0,0,0] cbsz:4 blgp:4// 000000003B20: D3AC7000 0003178F D3AD8C14 84527978
	s_cselect_b32 s68, s68, 0                                  // 000000003B30: 85448044
	buffer_load_dwordx4 v[108:111], v153, s[16:19], 0 offen    // 000000003B34: E05C1000 80046C99
	v_mfma_scale_f32_16x16x128_f8f6f4 a[24:27], v[124:127], v[56:59], a[24:27], v143, v139 op_sel_hi:[0,0,0] cbsz:4 blgp:4// 000000003B3C: D3AC4800 0003178F D3AD8C18 8462717C
	s_add_u32 s12, s12, s66                                    // 000000003B4C: 800C420C
	ds_read_b128 v[32:35], v146 offset:4288                    // 000000003B50: D9FE10C0 20000092
	v_mfma_scale_f32_16x16x128_f8f6f4 a[28:31], v[124:127], v[60:63], a[28:31], v143, v139 op_sel_hi:[0,0,0] cbsz:4 blgp:4// 000000003B58: D3AC7800 0003178F D3AD8C1C 8472797C
	s_addc_u32 s13, 0, s13                                     // 000000003B68: 820D0D80
	buffer_load_dwordx4 v[112:115], v152, s[16:19], 0 offen offset:1024// 000000003B6C: E05C1400 80047098
	v_mfma_scale_f32_16x16x128_f8f6f4 a[16:19], v[128:131], v[64:67], a[16:19], v143, v139 op_sel_hi:[0,0,0] cbsz:4 blgp:4// 000000003B74: D3AC4000 1803178F D3AD8C10 84428180
	s_sub_u32 s14, s14, s66                                    // 000000003B84: 808E420E
	ds_read_b128 v[28:31], v146 offset:4736                    // 000000003B88: D9FE1280 1C000092
	v_mfma_scale_f32_16x16x128_f8f6f4 a[20:23], v[128:131], v[68:71], a[20:23], v143, v139 op_sel_hi:[0,0,0] cbsz:4 blgp:4// 000000003B90: D3AC7000 1803178F D3AD8C14 84528980
	s_add_u32 s20, s20, s68                                    // 000000003BA0: 80144414
	buffer_load_dwordx4 v[116:119], v153, s[16:19], 0 offen offset:1024// 000000003BA4: E05C1400 80047499
	v_mfma_scale_f32_16x16x128_f8f6f4 a[24:27], v[132:135], v[64:67], a[24:27], v143, v139 op_sel_hi:[0,0,0] cbsz:4 blgp:4// 000000003BAC: D3AC6800 1803178F D3AD8C18 84628184
	s_addc_u32 s21, 0, s21                                     // 000000003BBC: 82151580
	ds_read_b128 v[36:39], v146 offset:4800                    // 000000003BC0: D9FE12C0 24000092
	v_mfma_scale_f32_16x16x128_f8f6f4 a[28:31], v[132:135], v[68:71], a[28:31], v143, v139 op_sel_hi:[0,0,0] cbsz:4 blgp:4// 000000003BC8: D3AC7800 1803178F D3AD8C1C 84728984
	s_sub_u32 s22, s22, s68                                    // 000000003BD8: 80964416
	buffer_load_dword v142, v154, s[24:27], 0 offen            // 000000003BDC: E0501000 80068E9A
	ds_read_b32 v137, v151 offset:256                          // 000000003BE4: D86C0100 89000097
	s_add_u32 s63, 0x400, s60                                  // 000000003BEC: 803F3CFF 00000400
	s_cmp_lt_u32 s63, s61                                      // 000000003BF4: BF0A3D3F
	s_cselect_b32 s67, s67, 0                                  // 000000003BF8: 85438043
	s_cselect_b32 s69, s69, 0                                  // 000000003BFC: 85458045
	s_add_u32 s16, s16, s67                                    // 000000003C00: 80104310
	s_addc_u32 s17, 0, s17                                     // 000000003C04: 82111180
	s_sub_u32 s18, s18, s67                                    // 000000003C08: 80924312
	s_add_u32 s24, s24, s69                                    // 000000003C0C: 80184518
	s_addc_u32 s25, 0, s25                                     // 000000003C10: 82191980
	s_sub_u32 s26, s26, s69                                    // 000000003C14: 809A451A
	s_addk_i32 s60, 0x100                                      // 000000003C18: B73C0100
	s_cmp_lt_i32 s60, s61                                      // 000000003C1C: BF043D3C
	s_cbranch_scc0 label_0621                                  // 000000003C20: BF840218
	s_branch label_01F3                                        // 000000003C24: BF82FDE9

0000000000003c28 <label_040A>:
	s_waitcnt vmcnt(13) lgkmcnt(5)                             // 000000003C28: BF8C057D
	s_barrier                                                  // 000000003C2C: BF8A0000
	v_mfma_scale_f32_16x16x128_f8f6f4 a[0:3], v[72:75], v[8:11], a[0:3], v140, v136 op_sel_hi:[0,0,0] cbsz:4 blgp:4// 000000003C30: D3AC6000 0003118C D3AD8C00 84021148
	s_add_u32 m0, 0xc00, s65                                   // 000000003C40: 807C41FF 00000C00
	buffer_load_dword v150, s[20:23], 0 offen lds              // 000000003C48: E0511000 80050096
	v_mfma_scale_f32_16x16x128_f8f6f4 a[4:7], v[72:75], v[12:15], a[4:7], v140, v136 op_sel_hi:[0,0,0] cbsz:4 blgp:4// 000000003C50: D3AC7000 0003118C D3AD8C04 84121948
	ds_read_b128 v[40:43], v147                                // 000000003C60: D9FE0000 28000093
	v_mfma_scale_f32_16x16x128_f8f6f4 a[8:11], v[76:79], v[8:11], a[8:11], v140, v136 op_sel_hi:[0,0,0] cbsz:4 blgp:4// 000000003C68: D3AC6800 0003118C D3AD8C08 8422114C
	s_add_u32 m0, 0x6300, s64                                  // 000000003C78: 807C40FF 00006300
	buffer_load_dwordx4 v144, s[12:15], 0 offen lds            // 000000003C80: E05D1000 80030090
	v_mfma_scale_f32_16x16x128_f8f6f4 a[12:15], v[76:79], v[12:15], a[12:15], v140, v136 op_sel_hi:[0,0,0] cbsz:4 blgp:4// 000000003C88: D3AC5800 0003118C D3AD8C0C 8432194C
	ds_read_b128 v[48:51], v147 offset:64                      // 000000003C98: D9FE0040 30000093
	v_mfma_scale_f32_16x16x128_f8f6f4 a[0:3], v[80:83], v[16:19], a[0:3], v140, v136 op_sel_hi:[0,0,0] cbsz:4 blgp:4// 000000003CA0: D3AC6000 1803118C D3AD8C00 84022150
	s_add_u32 m0, 0x7380, s64                                  // 000000003CB0: 807C40FF 00007380
	buffer_load_dwordx4 v145, s[12:15], 0 offen lds            // 000000003CB8: E05D1000 80030091
	v_mfma_scale_f32_16x16x128_f8f6f4 a[4:7], v[80:83], v[20:23], a[4:7], v140, v136 op_sel_hi:[0,0,0] cbsz:4 blgp:4// 000000003CC0: D3AC7000 1803118C D3AD8C04 84122950
	s_add_u32 s62, 0x400, s60                                  // 000000003CD0: 803E3CFF 00000400
	ds_read_b128 v[44:47], v147 offset:512                     // 000000003CD8: D9FE0200 2C000093
	v_mfma_scale_f32_16x16x128_f8f6f4 a[8:11], v[84:87], v[16:19], a[8:11], v140, v136 op_sel_hi:[0,0,0] cbsz:4 blgp:4// 000000003CE0: D3AC6800 1803118C D3AD8C08 84222154
	s_cmp_lt_u32 s62, s61                                      // 000000003CF0: BF0A3D3E
	buffer_load_dwordx4 v[120:123], v152, s[16:19], 0 offen    // 000000003CF4: E05C1000 80047898
	v_mfma_scale_f32_16x16x128_f8f6f4 a[12:15], v[84:87], v[20:23], a[12:15], v140, v136 op_sel_hi:[0,0,0] cbsz:4 blgp:4// 000000003CFC: D3AC7800 1803118C D3AD8C0C 84322954
	s_cselect_b32 s66, s66, 0                                  // 000000003D0C: 85428042
	ds_read_b128 v[52:55], v147 offset:576                     // 000000003D10: D9FE0240 34000093
	ds_read_b32 v138, v151 offset:1024                         // 000000003D18: D86C0400 8A000097
	s_waitcnt lgkmcnt(5)                                       // 000000003D20: BF8CC57F
	v_mfma_scale_f32_16x16x128_f8f6f4 a[16:19], v[72:75], v[24:27], a[16:19], v140, v137 op_sel_hi:[0,0,0] cbsz:4 blgp:4// 000000003D24: D3AC6000 0003138C D3AD8C10 84423148
	s_cselect_b32 s68, s68, 0                                  // 000000003D34: 85448044
	buffer_load_dwordx4 v[124:127], v153, s[16:19], 0 offen    // 000000003D38: E05C1000 80047C99
	v_mfma_scale_f32_16x16x128_f8f6f4 a[20:23], v[72:75], v[28:31], a[20:23], v140, v137 op_sel_hi:[0,0,0] cbsz:4 blgp:4// 000000003D40: D3AC7000 0003138C D3AD8C14 84523948
	s_add_u32 s12, s12, s66                                    // 000000003D50: 800C420C
	ds_read_b128 v[56:59], v147 offset:4224                    // 000000003D54: D9FE1080 38000093
	v_mfma_scale_f32_16x16x128_f8f6f4 a[24:27], v[76:79], v[24:27], a[24:27], v140, v137 op_sel_hi:[0,0,0] cbsz:4 blgp:4// 000000003D5C: D3AC6800 0003138C D3AD8C18 8462314C
	s_addc_u32 s13, 0, s13                                     // 000000003D6C: 820D0D80
	buffer_load_dwordx4 v[128:131], v152, s[16:19], 0 offen offset:1024// 000000003D70: E05C1400 80048098
	v_mfma_scale_f32_16x16x128_f8f6f4 a[28:31], v[76:79], v[28:31], a[28:31], v140, v137 op_sel_hi:[0,0,0] cbsz:4 blgp:4// 000000003D78: D3AC7800 0003138C D3AD8C1C 8472394C
	s_sub_u32 s14, s14, s66                                    // 000000003D88: 808E420E
	ds_read_b128 v[64:67], v147 offset:4288                    // 000000003D8C: D9FE10C0 40000093
	v_mfma_scale_f32_16x16x128_f8f6f4 a[16:19], v[80:83], v[32:35], a[16:19], v140, v137 op_sel_hi:[0,0,0] cbsz:4 blgp:4// 000000003D94: D3AC6000 1803138C D3AD8C10 84424150
	s_add_u32 s20, s20, s68                                    // 000000003DA4: 80144414
	buffer_load_dwordx4 v[132:135], v153, s[16:19], 0 offen offset:1024// 000000003DA8: E05C1400 80048499
	v_mfma_scale_f32_16x16x128_f8f6f4 a[20:23], v[80:83], v[36:39], a[20:23], v140, v137 op_sel_hi:[0,0,0] cbsz:4 blgp:4// 000000003DB0: D3AC7000 1803138C D3AD8C14 84524950
	s_addc_u32 s21, 0, s21                                     // 000000003DC0: 82151580
	ds_read_b128 v[60:63], v147 offset:4736                    // 000000003DC4: D9FE1280 3C000093
	v_mfma_scale_f32_16x16x128_f8f6f4 a[24:27], v[84:87], v[32:35], a[24:27], v140, v137 op_sel_hi:[0,0,0] cbsz:4 blgp:4// 000000003DCC: D3AC6800 1803138C D3AD8C18 84624154
	s_sub_u32 s22, s22, s68                                    // 000000003DDC: 80964416
	buffer_load_dword v143, v154, s[24:27], 0 offen            // 000000003DE0: E0501000 80068F9A
	v_mfma_scale_f32_16x16x128_f8f6f4 a[28:31], v[84:87], v[36:39], a[28:31], v140, v137 op_sel_hi:[0,0,0] cbsz:4 blgp:4// 000000003DE8: D3AC7800 1803138C D3AD8C1C 84724954
	s_add_u32 s63, 0x400, s60                                  // 000000003DF8: 803F3CFF 00000400
	ds_read_b128 v[68:71], v147 offset:4800                    // 000000003E00: D9FE12C0 44000093
	ds_read_b32 v139, v151 offset:1280                         // 000000003E08: D86C0500 8B000097
	s_cmp_lt_u32 s63, s61                                      // 000000003E10: BF0A3D3F
	s_cselect_b32 s67, s67, 0                                  // 000000003E14: 85438043
	s_cselect_b32 s69, s69, 0                                  // 000000003E18: 85458045
	s_add_u32 s16, s16, s67                                    // 000000003E1C: 80104310
	s_addc_u32 s17, 0, s17                                     // 000000003E20: 82111180
	s_sub_u32 s18, s18, s67                                    // 000000003E24: 80924312
	s_add_u32 s24, s24, s69                                    // 000000003E28: 80184518
	s_addc_u32 s25, 0, s25                                     // 000000003E2C: 82191980
	s_sub_u32 s26, s26, s69                                    // 000000003E30: 809A451A
	s_addk_i32 s60, 0x100                                      // 000000003E34: B73C0100
	s_cmp_lt_i32 s60, s61                                      // 000000003E38: BF043D3C
	s_cbranch_scc0 label_0621                                  // 000000003E3C: BF840191
	s_waitcnt vmcnt(13) lgkmcnt(5)                             // 000000003E40: BF8C057D
	s_barrier                                                  // 000000003E44: BF8A0000
	v_mfma_scale_f32_16x16x128_f8f6f4 a[0:3], v[88:91], v[40:43], a[0:3], v141, v138 op_sel_hi:[0,0,0] cbsz:4 blgp:4// 000000003E48: D3AC6000 0003158D D3AD8C00 84025158
	s_add_u32 m0, 0, s65                                       // 000000003E58: 807C4180
	buffer_load_dword v150, s[20:23], 0 offen lds              // 000000003E5C: E0511000 80050096
	v_mfma_scale_f32_16x16x128_f8f6f4 a[4:7], v[88:91], v[44:47], a[4:7], v141, v138 op_sel_hi:[0,0,0] cbsz:4 blgp:4// 000000003E64: D3AC7000 0003158D D3AD8C04 84125958
	ds_read_b128 v[8:11], v148                                 // 000000003E74: D9FE0000 08000094
	v_mfma_scale_f32_16x16x128_f8f6f4 a[8:11], v[92:95], v[40:43], a[8:11], v141, v138 op_sel_hi:[0,0,0] cbsz:4 blgp:4// 000000003E7C: D3AC6800 0003158D D3AD8C08 8422515C
	s_add_u32 m0, 0, s64                                       // 000000003E8C: 807C4080
	buffer_load_dwordx4 v144, s[12:15], 0 offen lds            // 000000003E90: E05D1000 80030090
	v_mfma_scale_f32_16x16x128_f8f6f4 a[12:15], v[92:95], v[44:47], a[12:15], v141, v138 op_sel_hi:[0,0,0] cbsz:4 blgp:4// 000000003E98: D3AC7800 0003158D D3AD8C0C 8432595C
	ds_read_b128 v[16:19], v148 offset:64                      // 000000003EA8: D9FE0040 10000094
	v_mfma_scale_f32_16x16x128_f8f6f4 a[0:3], v[96:99], v[48:51], a[0:3], v141, v138 op_sel_hi:[0,0,0] cbsz:4 blgp:4// 000000003EB0: D3AC6000 1803158D D3AD8C00 84026160
	s_add_u32 m0, 0x1080, s64                                  // 000000003EC0: 807C40FF 00001080
	buffer_load_dwordx4 v145, s[12:15], 0 offen lds            // 000000003EC8: E05D1000 80030091
	v_mfma_scale_f32_16x16x128_f8f6f4 a[4:7], v[96:99], v[52:55], a[4:7], v141, v138 op_sel_hi:[0,0,0] cbsz:4 blgp:4// 000000003ED0: D3AC7000 1803158D D3AD8C04 84126960
	s_add_u32 s62, 0x400, s60                                  // 000000003EE0: 803E3CFF 00000400
	ds_read_b128 v[12:15], v148 offset:512                     // 000000003EE8: D9FE0200 0C000094
	v_mfma_scale_f32_16x16x128_f8f6f4 a[8:11], v[100:103], v[48:51], a[8:11], v141, v138 op_sel_hi:[0,0,0] cbsz:4 blgp:4// 000000003EF0: D3AC6800 1803158D D3AD8C08 84226164
	s_cmp_lt_u32 s62, s61                                      // 000000003F00: BF0A3D3E
	buffer_load_dwordx4 v[72:75], v152, s[16:19], 0 offen      // 000000003F04: E05C1000 80044898
	v_mfma_scale_f32_16x16x128_f8f6f4 a[12:15], v[100:103], v[52:55], a[12:15], v141, v138 op_sel_hi:[0,0,0] cbsz:4 blgp:4// 000000003F0C: D3AC7800 1803158D D3AD8C0C 84326964
	s_cselect_b32 s66, s66, 0                                  // 000000003F1C: 85428042
	ds_read_b128 v[20:23], v148 offset:576                     // 000000003F20: D9FE0240 14000094
	ds_read_b32 v136, v151 offset:2048                         // 000000003F28: D86C0800 88000097
	s_waitcnt lgkmcnt(5)                                       // 000000003F30: BF8CC57F
	v_mfma_scale_f32_16x16x128_f8f6f4 a[16:19], v[88:91], v[56:59], a[16:19], v141, v139 op_sel_hi:[0,0,0] cbsz:4 blgp:4// 000000003F34: D3AC6000 0003178D D3AD8C10 84427158
	s_cselect_b32 s68, s68, 0                                  // 000000003F44: 85448044
	buffer_load_dwordx4 v[76:79], v153, s[16:19], 0 offen      // 000000003F48: E05C1000 80044C99
	v_mfma_scale_f32_16x16x128_f8f6f4 a[20:23], v[88:91], v[60:63], a[20:23], v141, v139 op_sel_hi:[0,0,0] cbsz:4 blgp:4// 000000003F50: D3AC7000 0003178D D3AD8C14 84527958
	s_add_u32 s12, s12, s66                                    // 000000003F60: 800C420C
	ds_read_b128 v[24:27], v148 offset:4224                    // 000000003F64: D9FE1080 18000094
	v_mfma_scale_f32_16x16x128_f8f6f4 a[24:27], v[92:95], v[56:59], a[24:27], v141, v139 op_sel_hi:[0,0,0] cbsz:4 blgp:4// 000000003F6C: D3AC6800 0003178D D3AD8C18 8462715C
	s_addc_u32 s13, 0, s13                                     // 000000003F7C: 820D0D80
	buffer_load_dwordx4 v[80:83], v152, s[16:19], 0 offen offset:1024// 000000003F80: E05C1400 80045098
	v_mfma_scale_f32_16x16x128_f8f6f4 a[28:31], v[92:95], v[60:63], a[28:31], v141, v139 op_sel_hi:[0,0,0] cbsz:4 blgp:4// 000000003F88: D3AC7800 0003178D D3AD8C1C 8472795C
	s_sub_u32 s14, s14, s66                                    // 000000003F98: 808E420E
	ds_read_b128 v[32:35], v148 offset:4288                    // 000000003F9C: D9FE10C0 20000094
	v_mfma_scale_f32_16x16x128_f8f6f4 a[16:19], v[96:99], v[64:67], a[16:19], v141, v139 op_sel_hi:[0,0,0] cbsz:4 blgp:4// 000000003FA4: D3AC6000 1803178D D3AD8C10 84428160
	s_add_u32 s20, s20, s68                                    // 000000003FB4: 80144414
	buffer_load_dwordx4 v[84:87], v153, s[16:19], 0 offen offset:1024// 000000003FB8: E05C1400 80045499
	v_mfma_scale_f32_16x16x128_f8f6f4 a[20:23], v[96:99], v[68:71], a[20:23], v141, v139 op_sel_hi:[0,0,0] cbsz:4 blgp:4// 000000003FC0: D3AC1000 1803178D D3AD8C14 84528960
	s_addc_u32 s21, 0, s21                                     // 000000003FD0: 82151580
	ds_read_b128 v[28:31], v148 offset:4736                    // 000000003FD4: D9FE1280 1C000094
	v_mfma_scale_f32_16x16x128_f8f6f4 a[24:27], v[100:103], v[64:67], a[24:27], v141, v139 op_sel_hi:[0,0,0] cbsz:4 blgp:4// 000000003FDC: D3AC6800 1803178D D3AD8C18 84628164
	s_sub_u32 s22, s22, s68                                    // 000000003FEC: 80964416
	buffer_load_dword v140, v154, s[24:27], 0 offen            // 000000003FF0: E0501000 80068C9A
	v_mfma_scale_f32_16x16x128_f8f6f4 a[28:31], v[100:103], v[68:71], a[28:31], v141, v139 op_sel_hi:[0,0,0] cbsz:4 blgp:4// 000000003FF8: D3AC7800 1803178D D3AD8C1C 84728964
	s_add_u32 s63, 0x400, s60                                  // 000000004008: 803F3CFF 00000400
	ds_read_b128 v[36:39], v148 offset:4800                    // 000000004010: D9FE12C0 24000094
	ds_read_b32 v137, v151 offset:2304                         // 000000004018: D86C0900 89000097
	s_cmp_lt_u32 s63, s61                                      // 000000004020: BF0A3D3F
	s_cselect_b32 s67, s67, 0                                  // 000000004024: 85438043
	s_cselect_b32 s69, s69, 0                                  // 000000004028: 85458045
	s_add_u32 s16, s16, s67                                    // 00000000402C: 80104310
	s_addc_u32 s17, 0, s17                                     // 000000004030: 82111180
	s_sub_u32 s18, s18, s67                                    // 000000004034: 80924312
	s_add_u32 s24, s24, s69                                    // 000000004038: 80184518
	s_addc_u32 s25, 0, s25                                     // 00000000403C: 82191980
	s_sub_u32 s26, s26, s69                                    // 000000004040: 809A451A
	s_addk_i32 s60, 0x100                                      // 000000004044: B73C0100
	s_cmp_lt_i32 s60, s61                                      // 000000004048: BF043D3C
	s_cbranch_scc0 label_0621                                  // 00000000404C: BF84010D
	s_waitcnt vmcnt(13) lgkmcnt(5)                             // 000000004050: BF8C057D
	s_barrier                                                  // 000000004054: BF8A0000
	v_mfma_scale_f32_16x16x128_f8f6f4 a[0:3], v[104:107], v[8:11], a[0:3], v142, v136 op_sel_hi:[0,0,0] cbsz:4 blgp:4// 000000004058: D3AC6000 0003118E D3AD8C00 84021168
	s_add_u32 m0, 0x400, s65                                   // 000000004068: 807C41FF 00000400
	buffer_load_dword v150, s[20:23], 0 offen lds              // 000000004070: E0511000 80050096
	v_mfma_scale_f32_16x16x128_f8f6f4 a[4:7], v[104:107], v[12:15], a[4:7], v142, v136 op_sel_hi:[0,0,0] cbsz:4 blgp:4// 000000004078: D3AC7000 0003118E D3AD8C04 84121968
	ds_read_b128 v[40:43], v149                                // 000000004088: D9FE0000 28000095
	v_mfma_scale_f32_16x16x128_f8f6f4 a[8:11], v[108:111], v[8:11], a[8:11], v142, v136 op_sel_hi:[0,0,0] cbsz:4 blgp:4// 000000004090: D3AC6800 0003118E D3AD8C08 8422116C
	s_add_u32 m0, 0x2100, s64                                  // 0000000040A0: 807C40FF 00002100
	buffer_load_dwordx4 v144, s[12:15], 0 offen lds            // 0000000040A8: E05D1000 80030090
	v_mfma_scale_f32_16x16x128_f8f6f4 a[12:15], v[108:111], v[12:15], a[12:15], v142, v136 op_sel_hi:[0,0,0] cbsz:4 blgp:4// 0000000040B0: D3AC7800 0003118E D3AD8C0C 8432196C
	ds_read_b128 v[48:51], v149 offset:64                      // 0000000040C0: D9FE0040 30000095
	v_mfma_scale_f32_16x16x128_f8f6f4 a[0:3], v[112:115], v[16:19], a[0:3], v142, v136 op_sel_hi:[0,0,0] cbsz:4 blgp:4// 0000000040C8: D3AC6000 1803118E D3AD8C00 84022170
	s_add_u32 m0, 0x3180, s64                                  // 0000000040D8: 807C40FF 00003180
	buffer_load_dwordx4 v145, s[12:15], 0 offen lds            // 0000000040E0: E05D1000 80030091
	v_mfma_scale_f32_16x16x128_f8f6f4 a[4:7], v[112:115], v[20:23], a[4:7], v142, v136 op_sel_hi:[0,0,0] cbsz:4 blgp:4// 0000000040E8: D3AC7000 1803118E D3AD8C04 84122970
	s_add_u32 s62, 0x400, s60                                  // 0000000040F8: 803E3CFF 00000400
	ds_read_b128 v[44:47], v149 offset:512                     // 000000004100: D9FE0200 2C000095
	v_mfma_scale_f32_16x16x128_f8f6f4 a[8:11], v[116:119], v[16:19], a[8:11], v142, v136 op_sel_hi:[0,0,0] cbsz:4 blgp:4// 000000004108: D3AC6800 1803118E D3AD8C08 84222174
	s_cmp_lt_u32 s62, s61                                      // 000000004118: BF0A3D3E
	buffer_load_dwordx4 v[88:91], v152, s[16:19], 0 offen      // 00000000411C: E05C1000 80045898
	v_mfma_scale_f32_16x16x128_f8f6f4 a[12:15], v[116:119], v[20:23], a[12:15], v142, v136 op_sel_hi:[0,0,0] cbsz:4 blgp:4// 000000004124: D3AC7800 1803118E D3AD8C0C 84322974
	s_cselect_b32 s66, s66, 0                                  // 000000004134: 85428042
	ds_read_b128 v[52:55], v149 offset:576                     // 000000004138: D9FE0240 34000095
	ds_read_b32 v138, v151 offset:3072                         // 000000004140: D86C0C00 8A000097
	s_waitcnt lgkmcnt(5)                                       // 000000004148: BF8CC57F
	v_mfma_scale_f32_16x16x128_f8f6f4 a[16:19], v[104:107], v[24:27], a[16:19], v142, v137 op_sel_hi:[0,0,0] cbsz:4 blgp:4// 00000000414C: D3AC6000 0003138E D3AD8C10 84423168
	s_cselect_b32 s68, s68, 0                                  // 00000000415C: 85448044
	buffer_load_dwordx4 v[92:95], v153, s[16:19], 0 offen      // 000000004160: E05C1000 80045C99
	v_mfma_scale_f32_16x16x128_f8f6f4 a[20:23], v[104:107], v[28:31], a[20:23], v142, v137 op_sel_hi:[0,0,0] cbsz:4 blgp:4// 000000004168: D3AC7000 0003138E D3AD8C14 84523968
	s_add_u32 s12, s12, s66                                    // 000000004178: 800C420C
	ds_read_b128 v[56:59], v149 offset:4224                    // 00000000417C: D9FE1080 38000095
	v_mfma_scale_f32_16x16x128_f8f6f4 a[24:27], v[108:111], v[24:27], a[24:27], v142, v137 op_sel_hi:[0,0,0] cbsz:4 blgp:4// 000000004184: D3AC6800 0003138E D3AD8C18 8462316C
	s_addc_u32 s13, 0, s13                                     // 000000004194: 820D0D80
	buffer_load_dwordx4 v[96:99], v152, s[16:19], 0 offen offset:1024// 000000004198: E05C1400 80046098
	v_mfma_scale_f32_16x16x128_f8f6f4 a[28:31], v[108:111], v[28:31], a[28:31], v142, v137 op_sel_hi:[0,0,0] cbsz:4 blgp:4// 0000000041A0: D3AC7800 0003138E D3AD8C1C 8472396C
	s_sub_u32 s14, s14, s66                                    // 0000000041B0: 808E420E
	ds_read_b128 v[64:67], v149 offset:4288                    // 0000000041B4: D9FE10C0 40000095
	v_mfma_scale_f32_16x16x128_f8f6f4 a[16:19], v[112:115], v[32:35], a[16:19], v142, v137 op_sel_hi:[0,0,0] cbsz:4 blgp:4// 0000000041BC: D3AC6000 1803138E D3AD8C10 84424170
	s_add_u32 s20, s20, s68                                    // 0000000041CC: 80144414
	buffer_load_dwordx4 v[100:103], v153, s[16:19], 0 offen offset:1024// 0000000041D0: E05C1400 80046499
	v_mfma_scale_f32_16x16x128_f8f6f4 a[20:23], v[112:115], v[36:39], a[20:23], v142, v137 op_sel_hi:[0,0,0] cbsz:4 blgp:4// 0000000041D8: D3AC7000 1803138E D3AD8C14 84524970
	s_addc_u32 s21, 0, s21                                     // 0000000041E8: 82151580
	ds_read_b128 v[60:63], v149 offset:4736                    // 0000000041EC: D9FE1280 3C000095
	v_mfma_scale_f32_16x16x128_f8f6f4 a[24:27], v[116:119], v[32:35], a[24:27], v142, v137 op_sel_hi:[0,0,0] cbsz:4 blgp:4// 0000000041F4: D3AC6800 1803138E D3AD8C18 84624174
	s_sub_u32 s22, s22, s68                                    // 000000004204: 80964416
	buffer_load_dword v141, v154, s[24:27], 0 offen            // 000000004208: E0501000 80068D9A
	v_mfma_scale_f32_16x16x128_f8f6f4 a[28:31], v[116:119], v[36:39], a[28:31], v142, v137 op_sel_hi:[0,0,0] cbsz:4 blgp:4// 000000004210: D3AC7800 1803138E D3AD8C1C 84724974
	s_add_u32 s63, 0x400, s60                                  // 000000004220: 803F3CFF 00000400
	ds_read_b128 v[68:71], v149 offset:4800                    // 000000004228: D9FE12C0 44000095
	ds_read_b32 v139, v151 offset:3328                         // 000000004230: D86C0D00 8B000097
	s_cmp_lt_u32 s63, s61                                      // 000000004238: BF0A3D3F
	s_cselect_b32 s67, s67, 0                                  // 00000000423C: 85438043
	s_cselect_b32 s69, s69, 0                                  // 000000004240: 85458045
	s_add_u32 s16, s16, s67                                    // 000000004244: 80104310
	s_addc_u32 s17, 0, s17                                     // 000000004248: 82111180
	s_sub_u32 s18, s18, s67                                    // 00000000424C: 80924312
	s_add_u32 s24, s24, s69                                    // 000000004250: 80184518
	s_addc_u32 s25, 0, s25                                     // 000000004254: 82191980
	s_sub_u32 s26, s26, s69                                    // 000000004258: 809A451A
	s_addk_i32 s60, 0x100                                      // 00000000425C: B73C0100
	s_cmp_lt_i32 s60, s61                                      // 000000004260: BF043D3C
	s_cbranch_scc0 label_0621                                  // 000000004264: BF840087
	s_waitcnt vmcnt(13) lgkmcnt(5)                             // 000000004268: BF8C057D
	s_barrier                                                  // 00000000426C: BF8A0000
	v_mfma_scale_f32_16x16x128_f8f6f4 a[0:3], v[120:123], v[40:43], a[0:3], v143, v138 op_sel_hi:[0,0,0] cbsz:4 blgp:4// 000000004270: D3AC6000 0003158F D3AD8C00 84025178
	s_add_u32 m0, 0x800, s65                                   // 000000004280: 807C41FF 00000800
	buffer_load_dword v150, s[20:23], 0 offen lds              // 000000004288: E0511000 80050096
	v_mfma_scale_f32_16x16x128_f8f6f4 a[4:7], v[120:123], v[44:47], a[4:7], v143, v138 op_sel_hi:[0,0,0] cbsz:4 blgp:4// 000000004290: D3AC7000 0003158F D3AD8C04 84125978
	ds_read_b128 v[8:11], v146                                 // 0000000042A0: D9FE0000 08000092
	v_mfma_scale_f32_16x16x128_f8f6f4 a[8:11], v[124:127], v[40:43], a[8:11], v143, v138 op_sel_hi:[0,0,0] cbsz:4 blgp:4// 0000000042A8: D3AC6800 0003158F D3AD8C08 8422517C
	s_add_u32 m0, 0x4200, s64                                  // 0000000042B8: 807C40FF 00004200
	buffer_load_dwordx4 v144, s[12:15], 0 offen lds            // 0000000042C0: E05D1000 80030090
	v_mfma_scale_f32_16x16x128_f8f6f4 a[12:15], v[124:127], v[44:47], a[12:15], v143, v138 op_sel_hi:[0,0,0] cbsz:4 blgp:4// 0000000042C8: D3AC7800 0003158F D3AD8C0C 8432597C
	ds_read_b128 v[16:19], v146 offset:64                      // 0000000042D8: D9FE0040 10000092
	v_mfma_scale_f32_16x16x128_f8f6f4 a[0:3], v[128:131], v[48:51], a[0:3], v143, v138 op_sel_hi:[0,0,0] cbsz:4 blgp:4// 0000000042E0: D3AC6000 1803158F D3AD8C00 84026180
	s_add_u32 m0, 0x5280, s64                                  // 0000000042F0: 807C40FF 00005280
	buffer_load_dwordx4 v145, s[12:15], 0 offen lds            // 0000000042F8: E05D1000 80030091
	v_mfma_scale_f32_16x16x128_f8f6f4 a[4:7], v[128:131], v[52:55], a[4:7], v143, v138 op_sel_hi:[0,0,0] cbsz:4 blgp:4// 000000004300: D3AC7000 1803158F D3AD8C04 84126980
	s_add_u32 s62, 0x400, s60                                  // 000000004310: 803E3CFF 00000400
	ds_read_b128 v[12:15], v146 offset:512                     // 000000004318: D9FE0200 0C000092
	v_mfma_scale_f32_16x16x128_f8f6f4 a[8:11], v[132:135], v[48:51], a[8:11], v143, v138 op_sel_hi:[0,0,0] cbsz:4 blgp:4// 000000004320: D3AC6800 1803158F D3AD8C08 84226184
	s_cmp_lt_u32 s62, s61                                      // 000000004330: BF0A3D3E
	buffer_load_dwordx4 v[104:107], v152, s[16:19], 0 offen    // 000000004334: E05C1000 80046898
	v_mfma_scale_f32_16x16x128_f8f6f4 a[12:15], v[132:135], v[52:55], a[12:15], v143, v138 op_sel_hi:[0,0,0] cbsz:4 blgp:4// 00000000433C: D3AC7800 1803158F D3AD8C0C 84326984
	s_cselect_b32 s66, s66, 0                                  // 00000000434C: 85428042
	ds_read_b128 v[20:23], v146 offset:576                     // 000000004350: D9FE0240 14000092
	ds_read_b32 v136, v151                                     // 000000004358: D86C0000 88000097
	s_waitcnt lgkmcnt(5)                                       // 000000004360: BF8CC57F
	v_mfma_scale_f32_16x16x128_f8f6f4 a[16:19], v[120:123], v[56:59], a[16:19], v143, v139 op_sel_hi:[0,0,0] cbsz:4 blgp:4// 000000004364: D3AC6000 0003178F D3AD8C10 84427178
	s_cselect_b32 s68, s68, 0                                  // 000000004374: 85448044
	buffer_load_dwordx4 v[108:111], v153, s[16:19], 0 offen    // 000000004378: E05C1000 80046C99
	v_mfma_scale_f32_16x16x128_f8f6f4 a[20:23], v[120:123], v[60:63], a[20:23], v143, v139 op_sel_hi:[0,0,0] cbsz:4 blgp:4// 000000004380: D3AC7000 0003178F D3AD8C14 84527978
	s_add_u32 s12, s12, s66                                    // 000000004390: 800C420C
	ds_read_b128 v[24:27], v146 offset:4224                    // 000000004394: D9FE1080 18000092
	v_mfma_scale_f32_16x16x128_f8f6f4 a[24:27], v[124:127], v[56:59], a[24:27], v143, v139 op_sel_hi:[0,0,0] cbsz:4 blgp:4// 00000000439C: D3AC6800 0003178F D3AD8C18 8462717C
	s_addc_u32 s13, 0, s13                                     // 0000000043AC: 820D0D80
	buffer_load_dwordx4 v[112:115], v152, s[16:19], 0 offen offset:1024// 0000000043B0: E05C1400 80047098
	v_mfma_scale_f32_16x16x128_f8f6f4 a[28:31], v[124:127], v[60:63], a[28:31], v143, v139 op_sel_hi:[0,0,0] cbsz:4 blgp:4// 0000000043B8: D3AC7800 0003178F D3AD8C1C 8472797C
	s_sub_u32 s14, s14, s66                                    // 0000000043C8: 808E420E
	ds_read_b128 v[32:35], v146 offset:4288                    // 0000000043CC: D9FE10C0 20000092
	v_mfma_scale_f32_16x16x128_f8f6f4 a[16:19], v[128:131], v[64:67], a[16:19], v143, v139 op_sel_hi:[0,0,0] cbsz:4 blgp:4// 0000000043D4: D3AC6000 1803178F D3AD8C10 84428180
	s_add_u32 s20, s20, s68                                    // 0000000043E4: 80144414
	buffer_load_dwordx4 v[116:119], v153, s[16:19], 0 offen offset:1024// 0000000043E8: E05C1400 80047499
	v_mfma_scale_f32_16x16x128_f8f6f4 a[20:23], v[128:131], v[68:71], a[20:23], v143, v139 op_sel_hi:[0,0,0] cbsz:4 blgp:4// 0000000043F0: D3AC7000 1803178F D3AD8C14 84528980
	s_addc_u32 s21, 0, s21                                     // 000000004400: 82151580
	ds_read_b128 v[28:31], v146 offset:4736                    // 000000004404: D9FE1280 1C000092
	v_mfma_scale_f32_16x16x128_f8f6f4 a[24:27], v[132:135], v[64:67], a[24:27], v143, v139 op_sel_hi:[0,0,0] cbsz:4 blgp:4// 00000000440C: D3AC6800 1803178F D3AD8C18 84628184
	s_sub_u32 s22, s22, s68                                    // 00000000441C: 80964416
	buffer_load_dword v142, v154, s[24:27], 0 offen            // 000000004420: E0501000 80068E9A
	v_mfma_scale_f32_16x16x128_f8f6f4 a[28:31], v[132:135], v[68:71], a[28:31], v143, v139 op_sel_hi:[0,0,0] cbsz:4 blgp:4// 000000004428: D3AC7800 1803178F D3AD8C1C 84728984
	s_add_u32 s63, 0x400, s60                                  // 000000004438: 803F3CFF 00000400
	ds_read_b128 v[36:39], v146 offset:4800                    // 000000004440: D9FE12C0 24000092
	ds_read_b32 v137, v151 offset:256                          // 000000004448: D86C0100 89000097
	s_cmp_lt_u32 s63, s61                                      // 000000004450: BF0A3D3F
	s_cselect_b32 s67, s67, 0                                  // 000000004454: 85438043
	s_cselect_b32 s69, s69, 0                                  // 000000004458: 85458045
	s_add_u32 s16, s16, s67                                    // 00000000445C: 80104310
	s_addc_u32 s17, 0, s17                                     // 000000004460: 82111180
	s_sub_u32 s18, s18, s67                                    // 000000004464: 80924312
	s_add_u32 s24, s24, s69                                    // 000000004468: 80184518
	s_addc_u32 s25, 0, s25                                     // 00000000446C: 82191980
	s_sub_u32 s26, s26, s69                                    // 000000004470: 809A451A
	s_addk_i32 s60, 0x100                                      // 000000004474: B73C0100
	s_cmp_lt_i32 s60, s61                                      // 000000004478: BF043D3C
	s_cbranch_scc0 label_0621                                  // 00000000447C: BF840001
	s_branch label_040A                                        // 000000004480: BF82FDE9

0000000000004484 <label_0621>:
	s_waitcnt lgkmcnt(0)                                       // 000000004484: BF8CC07F
	s_mul_i32 s62, s47, 0x80                                   // 000000004488: 923EFF2F 00000080
	s_mul_i32 s63, s46, 32                                     // 000000004490: 923FA02E
	s_add_u32 s60, s62, s63                                    // 000000004494: 803C3F3E
	s_add_u32 s62, s60, 32                                     // 000000004498: 803EA03C
	s_cmp_lt_i32 s44, s62                                      // 00000000449C: BF043E2C
	s_cbranch_scc1 label_06AC                                  // 0000000044A0: BF850083
	s_mul_i32 s62, s36, 16                                     // 0000000044A4: 923E9024
	v_add_u32_e32 v159, 0, v155                                // 0000000044A8: 693F3680
	v_accvgpr_read_b32 v8, a0                                  // 0000000044AC: D3D84008 18000100
	v_accvgpr_read_b32 v9, a1                                  // 0000000044B4: D3D84009 18000101
	v_accvgpr_read_b32 v10, a2                                 // 0000000044BC: D3D8400A 18000102
	v_accvgpr_read_b32 v11, a3                                 // 0000000044C4: D3D8400B 18000103
	v_accvgpr_read_b32 v12, a8                                 // 0000000044CC: D3D8400C 18000108
	v_accvgpr_read_b32 v13, a9                                 // 0000000044D4: D3D8400D 18000109
	v_accvgpr_read_b32 v14, a10                                // 0000000044DC: D3D8400E 1800010A
	v_accvgpr_read_b32 v15, a11                                // 0000000044E4: D3D8400F 1800010B
	v_cvt_pk_bf16_f32 v16, v8, v9                              // 0000000044EC: D2680010 00021308
	v_cvt_pk_bf16_f32 v17, v10, v11                            // 0000000044F4: D2680011 0002170A
	v_cvt_pk_bf16_f32 v18, v12, v13                            // 0000000044FC: D2680012 00021B0C
	v_cvt_pk_bf16_f32 v19, v14, v15                            // 000000004504: D2680013 00021F0E
	s_nop 1                                                    // 00000000450C: BF800001
	v_permlane16_swap_b32_e32 v16, v18                         // 000000004510: 7E20B312
	s_nop 1                                                    // 000000004514: BF800001
	v_permlane16_swap_b32_e32 v17, v19                         // 000000004518: 7E22B313
	s_nop 1                                                    // 00000000451C: BF800001
	buffer_store_dwordx4 v[16:19], v159, s[4:7], 0 offen       // 000000004520: E07C1000 8001109F
	v_add_u32_e32 v159, s62, v159                              // 000000004528: 693F3E3E
	v_accvgpr_read_b32 v8, a4                                  // 00000000452C: D3D84008 18000104
	v_accvgpr_read_b32 v9, a5                                  // 000000004534: D3D84009 18000105
	v_accvgpr_read_b32 v10, a6                                 // 00000000453C: D3D8400A 18000106
	v_accvgpr_read_b32 v11, a7                                 // 000000004544: D3D8400B 18000107
	v_accvgpr_read_b32 v12, a12                                // 00000000454C: D3D8400C 1800010C
	v_accvgpr_read_b32 v13, a13                                // 000000004554: D3D8400D 1800010D
	v_accvgpr_read_b32 v14, a14                                // 00000000455C: D3D8400E 1800010E
	v_accvgpr_read_b32 v15, a15                                // 000000004564: D3D8400F 1800010F
	v_cvt_pk_bf16_f32 v16, v8, v9                              // 00000000456C: D2680010 00021308
	v_cvt_pk_bf16_f32 v17, v10, v11                            // 000000004574: D2680011 0002170A
	v_cvt_pk_bf16_f32 v18, v12, v13                            // 00000000457C: D2680012 00021B0C
	v_cvt_pk_bf16_f32 v19, v14, v15                            // 000000004584: D2680013 00021F0E
	s_nop 1                                                    // 00000000458C: BF800001
	v_permlane16_swap_b32_e32 v16, v18                         // 000000004590: 7E20B312
	s_nop 1                                                    // 000000004594: BF800001
	v_permlane16_swap_b32_e32 v17, v19                         // 000000004598: 7E22B313
	s_nop 1                                                    // 00000000459C: BF800001
	buffer_store_dwordx4 v[16:19], v159, s[4:7], 0 offen       // 0000000045A0: E07C1000 8001109F
	v_add_u32_e32 v159, s62, v159                              // 0000000045A8: 693F3E3E
	v_accvgpr_read_b32 v8, a16                                 // 0000000045AC: D3D84008 18000110
	v_accvgpr_read_b32 v9, a17                                 // 0000000045B4: D3D84009 18000111
	v_accvgpr_read_b32 v10, a18                                // 0000000045BC: D3D8400A 18000112
	v_accvgpr_read_b32 v11, a19                                // 0000000045C4: D3D8400B 18000113
	v_accvgpr_read_b32 v12, a24                                // 0000000045CC: D3D8400C 18000118
	v_accvgpr_read_b32 v13, a25                                // 0000000045D4: D3D8400D 18000119
	v_accvgpr_read_b32 v14, a26                                // 0000000045DC: D3D8400E 1800011A
	v_accvgpr_read_b32 v15, a27                                // 0000000045E4: D3D8400F 1800011B
	v_cvt_pk_bf16_f32 v16, v8, v9                              // 0000000045EC: D2680010 00021308
	v_cvt_pk_bf16_f32 v17, v10, v11                            // 0000000045F4: D2680011 0002170A
	v_cvt_pk_bf16_f32 v18, v12, v13                            // 0000000045FC: D2680012 00021B0C
	v_cvt_pk_bf16_f32 v19, v14, v15                            // 000000004604: D2680013 00021F0E
	s_nop 1                                                    // 00000000460C: BF800001
	v_permlane16_swap_b32_e32 v16, v18                         // 000000004610: 7E20B312
	s_nop 1                                                    // 000000004614: BF800001
	v_permlane16_swap_b32_e32 v17, v19                         // 000000004618: 7E22B313
	s_nop 1                                                    // 00000000461C: BF800001
	buffer_store_dwordx4 v[16:19], v159, s[4:7], 0 offen       // 000000004620: E07C1000 8001109F
	v_add_u32_e32 v159, s62, v159                              // 000000004628: 693F3E3E
	v_accvgpr_read_b32 v8, a20                                 // 00000000462C: D3D84008 18000114
	v_accvgpr_read_b32 v9, a21                                 // 000000004634: D3D84009 18000115
	v_accvgpr_read_b32 v10, a22                                // 00000000463C: D3D8400A 18000116
	v_accvgpr_read_b32 v11, a23                                // 000000004644: D3D8400B 18000117
	v_accvgpr_read_b32 v12, a28                                // 00000000464C: D3D8400C 1800011C
	v_accvgpr_read_b32 v13, a29                                // 000000004654: D3D8400D 1800011D
	v_accvgpr_read_b32 v14, a30                                // 00000000465C: D3D8400E 1800011E
	v_accvgpr_read_b32 v15, a31                                // 000000004664: D3D8400F 1800011F
	v_cvt_pk_bf16_f32 v16, v8, v9                              // 00000000466C: D2680010 00021308
	v_cvt_pk_bf16_f32 v17, v10, v11                            // 000000004674: D2680011 0002170A
	v_cvt_pk_bf16_f32 v18, v12, v13                            // 00000000467C: D2680012 00021B0C
	v_cvt_pk_bf16_f32 v19, v14, v15                            // 000000004684: D2680013 00021F0E
	s_nop 1                                                    // 00000000468C: BF800001
	v_permlane16_swap_b32_e32 v16, v18                         // 000000004690: 7E20B312
	s_nop 1                                                    // 000000004694: BF800001
	v_permlane16_swap_b32_e32 v17, v19                         // 000000004698: 7E22B313
	s_nop 1                                                    // 00000000469C: BF800001
	buffer_store_dwordx4 v[16:19], v159, s[4:7], 0 offen       // 0000000046A0: E07C1000 8001109F
	v_add_u32_e32 v159, s62, v159                              // 0000000046A8: 693F3E3E
	s_branch label_0731                                        // 0000000046AC: BF820085

00000000000046b0 <label_06AC>:
	s_mul_i32 s62, s36, 16                                     // 0000000046B0: 923E9024
	s_cmp_lt_i32 s60, s44                                      // 0000000046B4: BF042C3C
	s_cbranch_scc0 label_0731                                  // 0000000046B8: BF840082
	s_addk_i32 s60, 0x20                                       // 0000000046BC: B73C0020
	v_add_u32_e32 v159, 0, v155                                // 0000000046C0: 693F3680
	v_accvgpr_read_b32 v8, a0                                  // 0000000046C4: D3D84008 18000100
	v_accvgpr_read_b32 v9, a1                                  // 0000000046CC: D3D84009 18000101
	v_accvgpr_read_b32 v10, a2                                 // 0000000046D4: D3D8400A 18000102
	v_accvgpr_read_b32 v11, a3                                 // 0000000046DC: D3D8400B 18000103
	v_accvgpr_read_b32 v12, a8                                 // 0000000046E4: D3D8400C 18000108
	v_accvgpr_read_b32 v13, a9                                 // 0000000046EC: D3D8400D 18000109
	v_accvgpr_read_b32 v14, a10                                // 0000000046F4: D3D8400E 1800010A
	v_accvgpr_read_b32 v15, a11                                // 0000000046FC: D3D8400F 1800010B
	v_cvt_pk_bf16_f32 v16, v8, v9                              // 000000004704: D2680010 00021308
	v_cvt_pk_bf16_f32 v17, v10, v11                            // 00000000470C: D2680011 0002170A
	v_cvt_pk_bf16_f32 v18, v12, v13                            // 000000004714: D2680012 00021B0C
	v_cvt_pk_bf16_f32 v19, v14, v15                            // 00000000471C: D2680013 00021F0E
	s_nop 1                                                    // 000000004724: BF800001
	v_permlane16_swap_b32_e32 v16, v18                         // 000000004728: 7E20B312
	s_nop 1                                                    // 00000000472C: BF800001
	v_permlane16_swap_b32_e32 v17, v19                         // 000000004730: 7E22B313
	s_nop 1                                                    // 000000004734: BF800001
	buffer_store_dwordx4 v[16:19], v159, s[4:7], 0 offen       // 000000004738: E07C1000 8001109F
	v_add_u32_e32 v159, s62, v159                              // 000000004740: 693F3E3E
	v_accvgpr_read_b32 v8, a4                                  // 000000004744: D3D84008 18000104
	v_accvgpr_read_b32 v9, a5                                  // 00000000474C: D3D84009 18000105
	v_accvgpr_read_b32 v10, a6                                 // 000000004754: D3D8400A 18000106
	v_accvgpr_read_b32 v11, a7                                 // 00000000475C: D3D8400B 18000107
	v_accvgpr_read_b32 v12, a12                                // 000000004764: D3D8400C 1800010C
	v_accvgpr_read_b32 v13, a13                                // 00000000476C: D3D8400D 1800010D
	v_accvgpr_read_b32 v14, a14                                // 000000004774: D3D8400E 1800010E
	v_accvgpr_read_b32 v15, a15                                // 00000000477C: D3D8400F 1800010F
	v_cvt_pk_bf16_f32 v16, v8, v9                              // 000000004784: D2680010 00021308
	v_cvt_pk_bf16_f32 v17, v10, v11                            // 00000000478C: D2680011 0002170A
	v_cvt_pk_bf16_f32 v18, v12, v13                            // 000000004794: D2680012 00021B0C
	v_cvt_pk_bf16_f32 v19, v14, v15                            // 00000000479C: D2680013 00021F0E
	s_nop 1                                                    // 0000000047A4: BF800001
	v_permlane16_swap_b32_e32 v16, v18                         // 0000000047A8: 7E20B312
	s_nop 1                                                    // 0000000047AC: BF800001
	v_permlane16_swap_b32_e32 v17, v19                         // 0000000047B0: 7E22B313
	s_nop 1                                                    // 0000000047B4: BF800001
	buffer_store_dwordx4 v[16:19], v159, s[4:7], 0 offen       // 0000000047B8: E07C1000 8001109F
	v_add_u32_e32 v159, s62, v159                              // 0000000047C0: 693F3E3E
	v_accvgpr_read_b32 v8, a16                                 // 0000000047C4: D3D84008 18000110
	v_accvgpr_read_b32 v9, a17                                 // 0000000047CC: D3D84009 18000111
	v_accvgpr_read_b32 v10, a18                                // 0000000047D4: D3D8400A 18000112
	v_accvgpr_read_b32 v11, a19                                // 0000000047DC: D3D8400B 18000113
	v_accvgpr_read_b32 v12, a24                                // 0000000047E4: D3D8400C 18000118
	v_accvgpr_read_b32 v13, a25                                // 0000000047EC: D3D8400D 18000119
	v_accvgpr_read_b32 v14, a26                                // 0000000047F4: D3D8400E 1800011A
	v_accvgpr_read_b32 v15, a27                                // 0000000047FC: D3D8400F 1800011B
	v_cvt_pk_bf16_f32 v16, v8, v9                              // 000000004804: D2680010 00021308
	v_cvt_pk_bf16_f32 v17, v10, v11                            // 00000000480C: D2680011 0002170A
	v_cvt_pk_bf16_f32 v18, v12, v13                            // 000000004814: D2680012 00021B0C
	v_cvt_pk_bf16_f32 v19, v14, v15                            // 00000000481C: D2680013 00021F0E
	s_nop 1                                                    // 000000004824: BF800001
	v_permlane16_swap_b32_e32 v16, v18                         // 000000004828: 7E20B312
	s_nop 1                                                    // 00000000482C: BF800001
	v_permlane16_swap_b32_e32 v17, v19                         // 000000004830: 7E22B313
	s_nop 1                                                    // 000000004834: BF800001
	buffer_store_dwordx4 v[16:19], v159, s[4:7], 0 offen       // 000000004838: E07C1000 8001109F
	v_add_u32_e32 v159, s62, v159                              // 000000004840: 693F3E3E
	v_accvgpr_read_b32 v8, a20                                 // 000000004844: D3D84008 18000114
	v_accvgpr_read_b32 v9, a21                                 // 00000000484C: D3D84009 18000115
	v_accvgpr_read_b32 v10, a22                                // 000000004854: D3D8400A 18000116
	v_accvgpr_read_b32 v11, a23                                // 00000000485C: D3D8400B 18000117
	v_accvgpr_read_b32 v12, a28                                // 000000004864: D3D8400C 1800011C
	v_accvgpr_read_b32 v13, a29                                // 00000000486C: D3D8400D 1800011D
	v_accvgpr_read_b32 v14, a30                                // 000000004874: D3D8400E 1800011E
	v_accvgpr_read_b32 v15, a31                                // 00000000487C: D3D8400F 1800011F
	v_cvt_pk_bf16_f32 v16, v8, v9                              // 000000004884: D2680010 00021308
	v_cvt_pk_bf16_f32 v17, v10, v11                            // 00000000488C: D2680011 0002170A
	v_cvt_pk_bf16_f32 v18, v12, v13                            // 000000004894: D2680012 00021B0C
	v_cvt_pk_bf16_f32 v19, v14, v15                            // 00000000489C: D2680013 00021F0E
	s_nop 1                                                    // 0000000048A4: BF800001
	v_permlane16_swap_b32_e32 v16, v18                         // 0000000048A8: 7E20B312
	s_nop 1                                                    // 0000000048AC: BF800001
	v_permlane16_swap_b32_e32 v17, v19                         // 0000000048B0: 7E22B313
	s_nop 1                                                    // 0000000048B4: BF800001
	buffer_store_dwordx4 v[16:19], v159, s[4:7], 0 offen       // 0000000048B8: E07C1000 8001109F
	v_add_u32_e32 v159, s62, v159                              // 0000000048C0: 693F3E3E

00000000000048c4 <label_0731>:
	s_waitcnt vmcnt(0) expcnt(0) lgkmcnt(0)                    // 0000000048C4: BF8C0000
	s_endpgm                                                   // 0000000048C8: BF810000
